;; amdgpu-corpus repo=pytorch/pytorch kind=compiled arch=gfx906 opt=O3
	.amdgcn_target "amdgcn-amd-amdhsa--gfx906"
	.amdhsa_code_object_version 6
	.section	.text._ZN2at6native29vectorized_elementwise_kernelILi16EZZZNS0_12_GLOBAL__N_124renorm_scale_factor_implERNS_18TensorIteratorBaseEdENKUlvE_clEvENKUlvE_clEvEUldE_St5arrayIPcLm2EEEEviT0_T1_,"axG",@progbits,_ZN2at6native29vectorized_elementwise_kernelILi16EZZZNS0_12_GLOBAL__N_124renorm_scale_factor_implERNS_18TensorIteratorBaseEdENKUlvE_clEvENKUlvE_clEvEUldE_St5arrayIPcLm2EEEEviT0_T1_,comdat
	.globl	_ZN2at6native29vectorized_elementwise_kernelILi16EZZZNS0_12_GLOBAL__N_124renorm_scale_factor_implERNS_18TensorIteratorBaseEdENKUlvE_clEvENKUlvE_clEvEUldE_St5arrayIPcLm2EEEEviT0_T1_ ; -- Begin function _ZN2at6native29vectorized_elementwise_kernelILi16EZZZNS0_12_GLOBAL__N_124renorm_scale_factor_implERNS_18TensorIteratorBaseEdENKUlvE_clEvENKUlvE_clEvEUldE_St5arrayIPcLm2EEEEviT0_T1_
	.p2align	8
	.type	_ZN2at6native29vectorized_elementwise_kernelILi16EZZZNS0_12_GLOBAL__N_124renorm_scale_factor_implERNS_18TensorIteratorBaseEdENKUlvE_clEvENKUlvE_clEvEUldE_St5arrayIPcLm2EEEEviT0_T1_,@function
_ZN2at6native29vectorized_elementwise_kernelILi16EZZZNS0_12_GLOBAL__N_124renorm_scale_factor_implERNS_18TensorIteratorBaseEdENKUlvE_clEvENKUlvE_clEvEUldE_St5arrayIPcLm2EEEEviT0_T1_: ; @_ZN2at6native29vectorized_elementwise_kernelILi16EZZZNS0_12_GLOBAL__N_124renorm_scale_factor_implERNS_18TensorIteratorBaseEdENKUlvE_clEvENKUlvE_clEvEUldE_St5arrayIPcLm2EEEEviT0_T1_
; %bb.0:
	s_load_dword s0, s[4:5], 0x0
	s_load_dwordx4 s[8:11], s[4:5], 0x8
	s_load_dwordx2 s[12:13], s[4:5], 0x18
	s_lshl_b32 s2, s6, 10
	s_waitcnt lgkmcnt(0)
	s_sub_i32 s14, s0, s2
	s_cmpk_gt_i32 s14, 0x3ff
	s_mov_b64 s[0:1], -1
	s_cbranch_scc0 .LBB0_10
; %bb.1:
	s_ashr_i32 s3, s2, 31
	s_lshl_b64 s[0:1], s[2:3], 3
	s_add_u32 s4, s12, s0
	s_addc_u32 s5, s13, s1
	v_lshlrev_b32_e32 v13, 5, v0
	global_load_dwordx4 v[9:12], v13, s[4:5]
	global_load_dwordx4 v[5:8], v13, s[4:5] offset:16
	v_mov_b32_e32 v3, 0
	v_mov_b32_e32 v1, 0
	;; [unrolled: 1-line block ×4, first 2 shown]
	s_waitcnt vmcnt(1)
	v_cmp_lt_f64_e32 vcc, s[8:9], v[9:10]
	s_and_saveexec_b64 s[4:5], vcc
	s_cbranch_execz .LBB0_3
; %bb.2:
	s_mov_b32 s6, 0x9abcaf48
	s_mov_b32 s7, 0x3e7ad7f2
	v_add_f64 v[1:2], v[9:10], s[6:7]
	v_div_scale_f64 v[9:10], s[6:7], v[1:2], v[1:2], s[8:9]
	v_div_scale_f64 v[18:19], vcc, s[8:9], v[1:2], s[8:9]
	v_rcp_f64_e32 v[14:15], v[9:10]
	v_fma_f64 v[16:17], -v[9:10], v[14:15], 1.0
	v_fma_f64 v[14:15], v[14:15], v[16:17], v[14:15]
	v_fma_f64 v[16:17], -v[9:10], v[14:15], 1.0
	v_fma_f64 v[14:15], v[14:15], v[16:17], v[14:15]
	v_mul_f64 v[16:17], v[18:19], v[14:15]
	v_fma_f64 v[9:10], -v[9:10], v[16:17], v[18:19]
	v_div_fmas_f64 v[9:10], v[9:10], v[14:15], v[16:17]
	v_div_fixup_f64 v[1:2], v[9:10], v[1:2], s[8:9]
.LBB0_3:
	s_or_b64 exec, exec, s[4:5]
	v_cmp_lt_f64_e32 vcc, s[8:9], v[11:12]
	s_and_saveexec_b64 s[4:5], vcc
	s_cbranch_execz .LBB0_5
; %bb.4:
	s_mov_b32 s6, 0x9abcaf48
	s_mov_b32 s7, 0x3e7ad7f2
	v_add_f64 v[3:4], v[11:12], s[6:7]
	v_div_scale_f64 v[9:10], s[6:7], v[3:4], v[3:4], s[8:9]
	v_div_scale_f64 v[16:17], vcc, s[8:9], v[3:4], s[8:9]
	v_rcp_f64_e32 v[11:12], v[9:10]
	v_fma_f64 v[14:15], -v[9:10], v[11:12], 1.0
	v_fma_f64 v[11:12], v[11:12], v[14:15], v[11:12]
	v_fma_f64 v[14:15], -v[9:10], v[11:12], 1.0
	v_fma_f64 v[11:12], v[11:12], v[14:15], v[11:12]
	v_mul_f64 v[14:15], v[16:17], v[11:12]
	v_fma_f64 v[9:10], -v[9:10], v[14:15], v[16:17]
	v_div_fmas_f64 v[9:10], v[9:10], v[11:12], v[14:15]
	v_div_fixup_f64 v[3:4], v[9:10], v[3:4], s[8:9]
.LBB0_5:
	s_or_b64 exec, exec, s[4:5]
	s_waitcnt vmcnt(0)
	v_cmp_lt_f64_e32 vcc, s[8:9], v[5:6]
	v_mov_b32_e32 v11, 0
	v_mov_b32_e32 v9, 0
	;; [unrolled: 1-line block ×4, first 2 shown]
	s_and_saveexec_b64 s[4:5], vcc
	s_cbranch_execz .LBB0_7
; %bb.6:
	s_mov_b32 s6, 0x9abcaf48
	s_mov_b32 s7, 0x3e7ad7f2
	v_add_f64 v[5:6], v[5:6], s[6:7]
	v_div_scale_f64 v[9:10], s[6:7], v[5:6], v[5:6], s[8:9]
	v_div_scale_f64 v[18:19], vcc, s[8:9], v[5:6], s[8:9]
	v_rcp_f64_e32 v[14:15], v[9:10]
	v_fma_f64 v[16:17], -v[9:10], v[14:15], 1.0
	v_fma_f64 v[14:15], v[14:15], v[16:17], v[14:15]
	v_fma_f64 v[16:17], -v[9:10], v[14:15], 1.0
	v_fma_f64 v[14:15], v[14:15], v[16:17], v[14:15]
	v_mul_f64 v[16:17], v[18:19], v[14:15]
	v_fma_f64 v[9:10], -v[9:10], v[16:17], v[18:19]
	v_div_fmas_f64 v[9:10], v[9:10], v[14:15], v[16:17]
	v_div_fixup_f64 v[9:10], v[9:10], v[5:6], s[8:9]
.LBB0_7:
	s_or_b64 exec, exec, s[4:5]
	v_cmp_lt_f64_e32 vcc, s[8:9], v[7:8]
	s_and_saveexec_b64 s[4:5], vcc
	s_cbranch_execz .LBB0_9
; %bb.8:
	s_mov_b32 s6, 0x9abcaf48
	s_mov_b32 s7, 0x3e7ad7f2
	v_add_f64 v[5:6], v[7:8], s[6:7]
	v_div_scale_f64 v[7:8], s[6:7], v[5:6], v[5:6], s[8:9]
	v_div_scale_f64 v[16:17], vcc, s[8:9], v[5:6], s[8:9]
	v_rcp_f64_e32 v[11:12], v[7:8]
	v_fma_f64 v[14:15], -v[7:8], v[11:12], 1.0
	v_fma_f64 v[11:12], v[11:12], v[14:15], v[11:12]
	v_fma_f64 v[14:15], -v[7:8], v[11:12], 1.0
	v_fma_f64 v[11:12], v[11:12], v[14:15], v[11:12]
	v_mul_f64 v[14:15], v[16:17], v[11:12]
	v_fma_f64 v[7:8], -v[7:8], v[14:15], v[16:17]
	v_div_fmas_f64 v[7:8], v[7:8], v[11:12], v[14:15]
	v_div_fixup_f64 v[11:12], v[7:8], v[5:6], s[8:9]
.LBB0_9:
	s_or_b64 exec, exec, s[4:5]
	s_add_u32 s0, s10, s0
	s_addc_u32 s1, s11, s1
	global_store_dwordx4 v13, v[1:4], s[0:1]
	global_store_dwordx4 v13, v[9:12], s[0:1] offset:16
	s_mov_b64 s[0:1], 0
.LBB0_10:
	s_and_b64 vcc, exec, s[0:1]
	s_cbranch_vccz .LBB0_37
; %bb.11:
	v_mov_b32_e32 v13, 0
	v_mov_b32_e32 v17, 0
	v_cmp_gt_i32_e64 s[0:1], s14, v0
	v_mov_b32_e32 v14, 0
	v_or_b32_e32 v1, s2, v0
	v_mov_b32_e32 v18, 0
	v_mov_b32_e32 v2, v0
	s_and_saveexec_b64 s[4:5], s[0:1]
	s_cbranch_execz .LBB0_13
; %bb.12:
	v_mov_b32_e32 v2, 0
	v_lshlrev_b64 v[2:3], 3, v[1:2]
	v_mov_b32_e32 v4, s13
	v_add_co_u32_e32 v2, vcc, s12, v2
	v_addc_co_u32_e32 v3, vcc, v4, v3, vcc
	global_load_dwordx2 v[17:18], v[2:3], off
	v_or_b32_e32 v2, 0x100, v0
.LBB0_13:
	s_or_b64 exec, exec, s[4:5]
	v_cmp_gt_i32_e32 vcc, s14, v2
	s_and_saveexec_b64 s[4:5], vcc
	s_cbranch_execz .LBB0_15
; %bb.14:
	v_add_u32_e32 v3, s2, v2
	v_mov_b32_e32 v4, 0
	v_lshlrev_b64 v[3:4], 3, v[3:4]
	v_mov_b32_e32 v5, s13
	v_add_co_u32_e32 v3, vcc, s12, v3
	v_addc_co_u32_e32 v4, vcc, v5, v4, vcc
	global_load_dwordx2 v[13:14], v[3:4], off
	v_add_u32_e32 v2, 0x100, v2
.LBB0_15:
	s_or_b64 exec, exec, s[4:5]
	v_mov_b32_e32 v5, 0
	v_mov_b32_e32 v15, 0
	;; [unrolled: 1-line block ×4, first 2 shown]
	v_cmp_gt_i32_e32 vcc, s14, v2
	s_and_saveexec_b64 s[4:5], vcc
	s_cbranch_execz .LBB0_17
; %bb.16:
	v_add_u32_e32 v3, s2, v2
	v_mov_b32_e32 v4, 0
	v_lshlrev_b64 v[3:4], 3, v[3:4]
	v_mov_b32_e32 v7, s13
	v_add_co_u32_e32 v3, vcc, s12, v3
	v_addc_co_u32_e32 v4, vcc, v7, v4, vcc
	global_load_dwordx2 v[15:16], v[3:4], off
	v_add_u32_e32 v2, 0x100, v2
.LBB0_17:
	s_or_b64 exec, exec, s[4:5]
	v_cmp_gt_i32_e32 vcc, s14, v2
	s_and_saveexec_b64 s[4:5], vcc
	s_cbranch_execz .LBB0_19
; %bb.18:
	v_add_u32_e32 v2, s2, v2
	v_mov_b32_e32 v3, 0
	v_lshlrev_b64 v[2:3], 3, v[2:3]
	v_mov_b32_e32 v4, s13
	v_add_co_u32_e32 v2, vcc, s12, v2
	v_addc_co_u32_e32 v3, vcc, v4, v3, vcc
	global_load_dwordx2 v[5:6], v[2:3], off
.LBB0_19:
	s_or_b64 exec, exec, s[4:5]
	v_mov_b32_e32 v9, 0
	v_mov_b32_e32 v10, v9
	;; [unrolled: 1-line block ×8, first 2 shown]
	s_and_saveexec_b64 s[4:5], s[0:1]
	s_cbranch_execz .LBB0_23
; %bb.20:
	s_waitcnt vmcnt(0)
	v_cmp_lt_f64_e32 vcc, s[8:9], v[17:18]
	v_mov_b32_e32 v9, 0
	v_mov_b32_e32 v10, 0x3ff00000
	s_and_saveexec_b64 s[6:7], vcc
	s_cbranch_execz .LBB0_22
; %bb.21:
	s_mov_b32 s12, 0x9abcaf48
	s_mov_b32 s13, 0x3e7ad7f2
	v_add_f64 v[2:3], v[17:18], s[12:13]
	v_div_scale_f64 v[7:8], s[12:13], v[2:3], v[2:3], s[8:9]
	v_div_scale_f64 v[17:18], vcc, s[8:9], v[2:3], s[8:9]
	v_rcp_f64_e32 v[9:10], v[7:8]
	v_fma_f64 v[11:12], -v[7:8], v[9:10], 1.0
	v_fma_f64 v[9:10], v[9:10], v[11:12], v[9:10]
	v_fma_f64 v[11:12], -v[7:8], v[9:10], 1.0
	v_fma_f64 v[9:10], v[9:10], v[11:12], v[9:10]
	v_mul_f64 v[11:12], v[17:18], v[9:10]
	v_fma_f64 v[7:8], -v[7:8], v[11:12], v[17:18]
	v_div_fmas_f64 v[7:8], v[7:8], v[9:10], v[11:12]
	v_div_fixup_f64 v[9:10], v[7:8], v[2:3], s[8:9]
.LBB0_22:
	s_or_b64 exec, exec, s[6:7]
	v_mov_b32_e32 v11, 0
	v_mov_b32_e32 v12, v11
	;; [unrolled: 1-line block ×6, first 2 shown]
.LBB0_23:
	s_or_b64 exec, exec, s[4:5]
	s_waitcnt vmcnt(0)
	v_or_b32_e32 v17, 0x100, v0
	v_cmp_gt_i32_e32 vcc, s14, v17
	s_and_saveexec_b64 s[4:5], vcc
	s_cbranch_execz .LBB0_27
; %bb.24:
	v_cmp_lt_f64_e32 vcc, s[8:9], v[13:14]
	v_mov_b32_e32 v11, 0
	v_mov_b32_e32 v12, 0x3ff00000
	s_and_saveexec_b64 s[6:7], vcc
	s_cbranch_execz .LBB0_26
; %bb.25:
	s_mov_b32 s12, 0x9abcaf48
	s_mov_b32 s13, 0x3e7ad7f2
	v_add_f64 v[11:12], v[13:14], s[12:13]
	v_div_scale_f64 v[13:14], s[12:13], v[11:12], v[11:12], s[8:9]
	v_div_scale_f64 v[22:23], vcc, s[8:9], v[11:12], s[8:9]
	v_rcp_f64_e32 v[18:19], v[13:14]
	v_fma_f64 v[20:21], -v[13:14], v[18:19], 1.0
	v_fma_f64 v[18:19], v[18:19], v[20:21], v[18:19]
	v_fma_f64 v[20:21], -v[13:14], v[18:19], 1.0
	v_fma_f64 v[18:19], v[18:19], v[20:21], v[18:19]
	v_mul_f64 v[20:21], v[22:23], v[18:19]
	v_fma_f64 v[13:14], -v[13:14], v[20:21], v[22:23]
	v_div_fmas_f64 v[13:14], v[13:14], v[18:19], v[20:21]
	v_div_fixup_f64 v[11:12], v[13:14], v[11:12], s[8:9]
.LBB0_26:
	s_or_b64 exec, exec, s[6:7]
.LBB0_27:
	s_or_b64 exec, exec, s[4:5]
	v_or_b32_e32 v2, 0x200, v0
	v_cmp_gt_i32_e32 vcc, s14, v2
	s_and_saveexec_b64 s[4:5], vcc
	s_cbranch_execz .LBB0_31
; %bb.28:
	v_cmp_lt_f64_e32 vcc, s[8:9], v[15:16]
	v_mov_b32_e32 v7, 0
	v_mov_b32_e32 v8, 0x3ff00000
	s_and_saveexec_b64 s[6:7], vcc
	s_cbranch_execz .LBB0_30
; %bb.29:
	s_mov_b32 s12, 0x9abcaf48
	s_mov_b32 s13, 0x3e7ad7f2
	v_add_f64 v[7:8], v[15:16], s[12:13]
	v_div_scale_f64 v[13:14], s[12:13], v[7:8], v[7:8], s[8:9]
	v_div_scale_f64 v[20:21], vcc, s[8:9], v[7:8], s[8:9]
	v_rcp_f64_e32 v[15:16], v[13:14]
	v_fma_f64 v[18:19], -v[13:14], v[15:16], 1.0
	v_fma_f64 v[15:16], v[15:16], v[18:19], v[15:16]
	v_fma_f64 v[18:19], -v[13:14], v[15:16], 1.0
	v_fma_f64 v[15:16], v[15:16], v[18:19], v[15:16]
	v_mul_f64 v[18:19], v[20:21], v[15:16]
	v_fma_f64 v[13:14], -v[13:14], v[18:19], v[20:21]
	v_div_fmas_f64 v[13:14], v[13:14], v[15:16], v[18:19]
	v_div_fixup_f64 v[7:8], v[13:14], v[7:8], s[8:9]
.LBB0_30:
	s_or_b64 exec, exec, s[6:7]
.LBB0_31:
	s_or_b64 exec, exec, s[4:5]
	v_or_b32_e32 v2, 0x300, v0
	v_cmp_gt_i32_e32 vcc, s14, v2
	s_and_saveexec_b64 s[4:5], vcc
	s_cbranch_execnz .LBB0_38
; %bb.32:
	s_or_b64 exec, exec, s[4:5]
	s_and_saveexec_b64 s[4:5], s[0:1]
	s_xor_b64 s[0:1], exec, s[4:5]
	s_cbranch_execnz .LBB0_41
.LBB0_33:
	s_or_b64 exec, exec, s[0:1]
	v_cmp_gt_i32_e32 vcc, s14, v0
	s_and_saveexec_b64 s[0:1], vcc
	s_cbranch_execnz .LBB0_42
.LBB0_34:
	s_or_b64 exec, exec, s[0:1]
	v_cmp_gt_i32_e32 vcc, s14, v0
	s_and_saveexec_b64 s[0:1], vcc
	s_cbranch_execnz .LBB0_43
.LBB0_35:
	s_or_b64 exec, exec, s[0:1]
	v_cmp_gt_i32_e32 vcc, s14, v0
	s_and_saveexec_b64 s[0:1], vcc
	s_cbranch_execz .LBB0_37
.LBB0_36:
	v_add_u32_e32 v0, s2, v0
	v_mov_b32_e32 v1, 0
	v_lshlrev_b64 v[0:1], 3, v[0:1]
	v_mov_b32_e32 v2, s11
	v_add_co_u32_e32 v0, vcc, s10, v0
	v_addc_co_u32_e32 v1, vcc, v2, v1, vcc
	global_store_dwordx2 v[0:1], v[3:4], off
.LBB0_37:
	s_endpgm
.LBB0_38:
	v_cmp_lt_f64_e32 vcc, s[8:9], v[5:6]
	v_mov_b32_e32 v3, 0
	v_mov_b32_e32 v4, 0x3ff00000
	s_and_saveexec_b64 s[6:7], vcc
	s_cbranch_execz .LBB0_40
; %bb.39:
	s_mov_b32 s12, 0x9abcaf48
	s_mov_b32 s13, 0x3e7ad7f2
	v_add_f64 v[2:3], v[5:6], s[12:13]
	v_div_scale_f64 v[4:5], s[12:13], v[2:3], v[2:3], s[8:9]
	v_div_scale_f64 v[18:19], vcc, s[8:9], v[2:3], s[8:9]
	v_rcp_f64_e32 v[13:14], v[4:5]
	v_fma_f64 v[15:16], -v[4:5], v[13:14], 1.0
	v_fma_f64 v[13:14], v[13:14], v[15:16], v[13:14]
	v_fma_f64 v[15:16], -v[4:5], v[13:14], 1.0
	v_fma_f64 v[13:14], v[13:14], v[15:16], v[13:14]
	v_mul_f64 v[15:16], v[18:19], v[13:14]
	v_fma_f64 v[4:5], -v[4:5], v[15:16], v[18:19]
	v_div_fmas_f64 v[4:5], v[4:5], v[13:14], v[15:16]
	v_div_fixup_f64 v[3:4], v[4:5], v[2:3], s[8:9]
.LBB0_40:
	s_or_b64 exec, exec, s[6:7]
	s_or_b64 exec, exec, s[4:5]
	s_and_saveexec_b64 s[4:5], s[0:1]
	s_xor_b64 s[0:1], exec, s[4:5]
	s_cbranch_execz .LBB0_33
.LBB0_41:
	v_mov_b32_e32 v2, 0
	v_lshlrev_b64 v[0:1], 3, v[1:2]
	v_mov_b32_e32 v2, s11
	v_add_co_u32_e32 v0, vcc, s10, v0
	v_addc_co_u32_e32 v1, vcc, v2, v1, vcc
	global_store_dwordx2 v[0:1], v[9:10], off
	v_mov_b32_e32 v0, v17
	s_or_b64 exec, exec, s[0:1]
	v_cmp_gt_i32_e32 vcc, s14, v0
	s_and_saveexec_b64 s[0:1], vcc
	s_cbranch_execz .LBB0_34
.LBB0_42:
	v_add_u32_e32 v1, s2, v0
	v_mov_b32_e32 v2, 0
	v_lshlrev_b64 v[1:2], 3, v[1:2]
	v_mov_b32_e32 v5, s11
	v_add_co_u32_e32 v1, vcc, s10, v1
	v_addc_co_u32_e32 v2, vcc, v5, v2, vcc
	v_add_u32_e32 v0, 0x100, v0
	global_store_dwordx2 v[1:2], v[11:12], off
	s_or_b64 exec, exec, s[0:1]
	v_cmp_gt_i32_e32 vcc, s14, v0
	s_and_saveexec_b64 s[0:1], vcc
	s_cbranch_execz .LBB0_35
.LBB0_43:
	v_add_u32_e32 v1, s2, v0
	v_mov_b32_e32 v2, 0
	v_lshlrev_b64 v[1:2], 3, v[1:2]
	v_mov_b32_e32 v5, s11
	v_add_co_u32_e32 v1, vcc, s10, v1
	v_addc_co_u32_e32 v2, vcc, v5, v2, vcc
	v_add_u32_e32 v0, 0x100, v0
	global_store_dwordx2 v[1:2], v[7:8], off
	s_or_b64 exec, exec, s[0:1]
	v_cmp_gt_i32_e32 vcc, s14, v0
	s_and_saveexec_b64 s[0:1], vcc
	s_cbranch_execnz .LBB0_36
	s_branch .LBB0_37
	.section	.rodata,"a",@progbits
	.p2align	6, 0x0
	.amdhsa_kernel _ZN2at6native29vectorized_elementwise_kernelILi16EZZZNS0_12_GLOBAL__N_124renorm_scale_factor_implERNS_18TensorIteratorBaseEdENKUlvE_clEvENKUlvE_clEvEUldE_St5arrayIPcLm2EEEEviT0_T1_
		.amdhsa_group_segment_fixed_size 0
		.amdhsa_private_segment_fixed_size 0
		.amdhsa_kernarg_size 32
		.amdhsa_user_sgpr_count 6
		.amdhsa_user_sgpr_private_segment_buffer 1
		.amdhsa_user_sgpr_dispatch_ptr 0
		.amdhsa_user_sgpr_queue_ptr 0
		.amdhsa_user_sgpr_kernarg_segment_ptr 1
		.amdhsa_user_sgpr_dispatch_id 0
		.amdhsa_user_sgpr_flat_scratch_init 0
		.amdhsa_user_sgpr_private_segment_size 0
		.amdhsa_uses_dynamic_stack 0
		.amdhsa_system_sgpr_private_segment_wavefront_offset 0
		.amdhsa_system_sgpr_workgroup_id_x 1
		.amdhsa_system_sgpr_workgroup_id_y 0
		.amdhsa_system_sgpr_workgroup_id_z 0
		.amdhsa_system_sgpr_workgroup_info 0
		.amdhsa_system_vgpr_workitem_id 0
		.amdhsa_next_free_vgpr 24
		.amdhsa_next_free_sgpr 15
		.amdhsa_reserve_vcc 1
		.amdhsa_reserve_flat_scratch 0
		.amdhsa_float_round_mode_32 0
		.amdhsa_float_round_mode_16_64 0
		.amdhsa_float_denorm_mode_32 3
		.amdhsa_float_denorm_mode_16_64 3
		.amdhsa_dx10_clamp 1
		.amdhsa_ieee_mode 1
		.amdhsa_fp16_overflow 0
		.amdhsa_exception_fp_ieee_invalid_op 0
		.amdhsa_exception_fp_denorm_src 0
		.amdhsa_exception_fp_ieee_div_zero 0
		.amdhsa_exception_fp_ieee_overflow 0
		.amdhsa_exception_fp_ieee_underflow 0
		.amdhsa_exception_fp_ieee_inexact 0
		.amdhsa_exception_int_div_zero 0
	.end_amdhsa_kernel
	.section	.text._ZN2at6native29vectorized_elementwise_kernelILi16EZZZNS0_12_GLOBAL__N_124renorm_scale_factor_implERNS_18TensorIteratorBaseEdENKUlvE_clEvENKUlvE_clEvEUldE_St5arrayIPcLm2EEEEviT0_T1_,"axG",@progbits,_ZN2at6native29vectorized_elementwise_kernelILi16EZZZNS0_12_GLOBAL__N_124renorm_scale_factor_implERNS_18TensorIteratorBaseEdENKUlvE_clEvENKUlvE_clEvEUldE_St5arrayIPcLm2EEEEviT0_T1_,comdat
.Lfunc_end0:
	.size	_ZN2at6native29vectorized_elementwise_kernelILi16EZZZNS0_12_GLOBAL__N_124renorm_scale_factor_implERNS_18TensorIteratorBaseEdENKUlvE_clEvENKUlvE_clEvEUldE_St5arrayIPcLm2EEEEviT0_T1_, .Lfunc_end0-_ZN2at6native29vectorized_elementwise_kernelILi16EZZZNS0_12_GLOBAL__N_124renorm_scale_factor_implERNS_18TensorIteratorBaseEdENKUlvE_clEvENKUlvE_clEvEUldE_St5arrayIPcLm2EEEEviT0_T1_
                                        ; -- End function
	.set _ZN2at6native29vectorized_elementwise_kernelILi16EZZZNS0_12_GLOBAL__N_124renorm_scale_factor_implERNS_18TensorIteratorBaseEdENKUlvE_clEvENKUlvE_clEvEUldE_St5arrayIPcLm2EEEEviT0_T1_.num_vgpr, 24
	.set _ZN2at6native29vectorized_elementwise_kernelILi16EZZZNS0_12_GLOBAL__N_124renorm_scale_factor_implERNS_18TensorIteratorBaseEdENKUlvE_clEvENKUlvE_clEvEUldE_St5arrayIPcLm2EEEEviT0_T1_.num_agpr, 0
	.set _ZN2at6native29vectorized_elementwise_kernelILi16EZZZNS0_12_GLOBAL__N_124renorm_scale_factor_implERNS_18TensorIteratorBaseEdENKUlvE_clEvENKUlvE_clEvEUldE_St5arrayIPcLm2EEEEviT0_T1_.numbered_sgpr, 15
	.set _ZN2at6native29vectorized_elementwise_kernelILi16EZZZNS0_12_GLOBAL__N_124renorm_scale_factor_implERNS_18TensorIteratorBaseEdENKUlvE_clEvENKUlvE_clEvEUldE_St5arrayIPcLm2EEEEviT0_T1_.num_named_barrier, 0
	.set _ZN2at6native29vectorized_elementwise_kernelILi16EZZZNS0_12_GLOBAL__N_124renorm_scale_factor_implERNS_18TensorIteratorBaseEdENKUlvE_clEvENKUlvE_clEvEUldE_St5arrayIPcLm2EEEEviT0_T1_.private_seg_size, 0
	.set _ZN2at6native29vectorized_elementwise_kernelILi16EZZZNS0_12_GLOBAL__N_124renorm_scale_factor_implERNS_18TensorIteratorBaseEdENKUlvE_clEvENKUlvE_clEvEUldE_St5arrayIPcLm2EEEEviT0_T1_.uses_vcc, 1
	.set _ZN2at6native29vectorized_elementwise_kernelILi16EZZZNS0_12_GLOBAL__N_124renorm_scale_factor_implERNS_18TensorIteratorBaseEdENKUlvE_clEvENKUlvE_clEvEUldE_St5arrayIPcLm2EEEEviT0_T1_.uses_flat_scratch, 0
	.set _ZN2at6native29vectorized_elementwise_kernelILi16EZZZNS0_12_GLOBAL__N_124renorm_scale_factor_implERNS_18TensorIteratorBaseEdENKUlvE_clEvENKUlvE_clEvEUldE_St5arrayIPcLm2EEEEviT0_T1_.has_dyn_sized_stack, 0
	.set _ZN2at6native29vectorized_elementwise_kernelILi16EZZZNS0_12_GLOBAL__N_124renorm_scale_factor_implERNS_18TensorIteratorBaseEdENKUlvE_clEvENKUlvE_clEvEUldE_St5arrayIPcLm2EEEEviT0_T1_.has_recursion, 0
	.set _ZN2at6native29vectorized_elementwise_kernelILi16EZZZNS0_12_GLOBAL__N_124renorm_scale_factor_implERNS_18TensorIteratorBaseEdENKUlvE_clEvENKUlvE_clEvEUldE_St5arrayIPcLm2EEEEviT0_T1_.has_indirect_call, 0
	.section	.AMDGPU.csdata,"",@progbits
; Kernel info:
; codeLenInByte = 1928
; TotalNumSgprs: 19
; NumVgprs: 24
; ScratchSize: 0
; MemoryBound: 1
; FloatMode: 240
; IeeeMode: 1
; LDSByteSize: 0 bytes/workgroup (compile time only)
; SGPRBlocks: 2
; VGPRBlocks: 5
; NumSGPRsForWavesPerEU: 19
; NumVGPRsForWavesPerEU: 24
; Occupancy: 10
; WaveLimiterHint : 0
; COMPUTE_PGM_RSRC2:SCRATCH_EN: 0
; COMPUTE_PGM_RSRC2:USER_SGPR: 6
; COMPUTE_PGM_RSRC2:TRAP_HANDLER: 0
; COMPUTE_PGM_RSRC2:TGID_X_EN: 1
; COMPUTE_PGM_RSRC2:TGID_Y_EN: 0
; COMPUTE_PGM_RSRC2:TGID_Z_EN: 0
; COMPUTE_PGM_RSRC2:TIDIG_COMP_CNT: 0
	.section	.text._ZN2at6native29vectorized_elementwise_kernelILi8EZZZNS0_12_GLOBAL__N_124renorm_scale_factor_implERNS_18TensorIteratorBaseEdENKUlvE_clEvENKUlvE_clEvEUldE_St5arrayIPcLm2EEEEviT0_T1_,"axG",@progbits,_ZN2at6native29vectorized_elementwise_kernelILi8EZZZNS0_12_GLOBAL__N_124renorm_scale_factor_implERNS_18TensorIteratorBaseEdENKUlvE_clEvENKUlvE_clEvEUldE_St5arrayIPcLm2EEEEviT0_T1_,comdat
	.globl	_ZN2at6native29vectorized_elementwise_kernelILi8EZZZNS0_12_GLOBAL__N_124renorm_scale_factor_implERNS_18TensorIteratorBaseEdENKUlvE_clEvENKUlvE_clEvEUldE_St5arrayIPcLm2EEEEviT0_T1_ ; -- Begin function _ZN2at6native29vectorized_elementwise_kernelILi8EZZZNS0_12_GLOBAL__N_124renorm_scale_factor_implERNS_18TensorIteratorBaseEdENKUlvE_clEvENKUlvE_clEvEUldE_St5arrayIPcLm2EEEEviT0_T1_
	.p2align	8
	.type	_ZN2at6native29vectorized_elementwise_kernelILi8EZZZNS0_12_GLOBAL__N_124renorm_scale_factor_implERNS_18TensorIteratorBaseEdENKUlvE_clEvENKUlvE_clEvEUldE_St5arrayIPcLm2EEEEviT0_T1_,@function
_ZN2at6native29vectorized_elementwise_kernelILi8EZZZNS0_12_GLOBAL__N_124renorm_scale_factor_implERNS_18TensorIteratorBaseEdENKUlvE_clEvENKUlvE_clEvEUldE_St5arrayIPcLm2EEEEviT0_T1_: ; @_ZN2at6native29vectorized_elementwise_kernelILi8EZZZNS0_12_GLOBAL__N_124renorm_scale_factor_implERNS_18TensorIteratorBaseEdENKUlvE_clEvENKUlvE_clEvEUldE_St5arrayIPcLm2EEEEviT0_T1_
; %bb.0:
	s_load_dword s0, s[4:5], 0x0
	s_load_dwordx4 s[8:11], s[4:5], 0x8
	s_load_dwordx2 s[12:13], s[4:5], 0x18
	s_lshl_b32 s2, s6, 10
	s_waitcnt lgkmcnt(0)
	s_sub_i32 s14, s0, s2
	s_cmpk_gt_i32 s14, 0x3ff
	s_mov_b64 s[0:1], -1
	s_cbranch_scc0 .LBB1_10
; %bb.1:
	s_ashr_i32 s3, s2, 31
	s_lshl_b64 s[0:1], s[2:3], 3
	s_add_u32 s4, s12, s0
	s_addc_u32 s5, s13, s1
	v_lshlrev_b32_e32 v13, 5, v0
	global_load_dwordx4 v[9:12], v13, s[4:5]
	global_load_dwordx4 v[5:8], v13, s[4:5] offset:16
	v_mov_b32_e32 v3, 0
	v_mov_b32_e32 v1, 0
	;; [unrolled: 1-line block ×4, first 2 shown]
	s_waitcnt vmcnt(1)
	v_cmp_lt_f64_e32 vcc, s[8:9], v[9:10]
	s_and_saveexec_b64 s[4:5], vcc
	s_cbranch_execz .LBB1_3
; %bb.2:
	s_mov_b32 s6, 0x9abcaf48
	s_mov_b32 s7, 0x3e7ad7f2
	v_add_f64 v[1:2], v[9:10], s[6:7]
	v_div_scale_f64 v[9:10], s[6:7], v[1:2], v[1:2], s[8:9]
	v_div_scale_f64 v[18:19], vcc, s[8:9], v[1:2], s[8:9]
	v_rcp_f64_e32 v[14:15], v[9:10]
	v_fma_f64 v[16:17], -v[9:10], v[14:15], 1.0
	v_fma_f64 v[14:15], v[14:15], v[16:17], v[14:15]
	v_fma_f64 v[16:17], -v[9:10], v[14:15], 1.0
	v_fma_f64 v[14:15], v[14:15], v[16:17], v[14:15]
	v_mul_f64 v[16:17], v[18:19], v[14:15]
	v_fma_f64 v[9:10], -v[9:10], v[16:17], v[18:19]
	v_div_fmas_f64 v[9:10], v[9:10], v[14:15], v[16:17]
	v_div_fixup_f64 v[1:2], v[9:10], v[1:2], s[8:9]
.LBB1_3:
	s_or_b64 exec, exec, s[4:5]
	v_cmp_lt_f64_e32 vcc, s[8:9], v[11:12]
	s_and_saveexec_b64 s[4:5], vcc
	s_cbranch_execz .LBB1_5
; %bb.4:
	s_mov_b32 s6, 0x9abcaf48
	s_mov_b32 s7, 0x3e7ad7f2
	v_add_f64 v[3:4], v[11:12], s[6:7]
	v_div_scale_f64 v[9:10], s[6:7], v[3:4], v[3:4], s[8:9]
	v_div_scale_f64 v[16:17], vcc, s[8:9], v[3:4], s[8:9]
	v_rcp_f64_e32 v[11:12], v[9:10]
	v_fma_f64 v[14:15], -v[9:10], v[11:12], 1.0
	v_fma_f64 v[11:12], v[11:12], v[14:15], v[11:12]
	v_fma_f64 v[14:15], -v[9:10], v[11:12], 1.0
	v_fma_f64 v[11:12], v[11:12], v[14:15], v[11:12]
	v_mul_f64 v[14:15], v[16:17], v[11:12]
	v_fma_f64 v[9:10], -v[9:10], v[14:15], v[16:17]
	v_div_fmas_f64 v[9:10], v[9:10], v[11:12], v[14:15]
	v_div_fixup_f64 v[3:4], v[9:10], v[3:4], s[8:9]
.LBB1_5:
	s_or_b64 exec, exec, s[4:5]
	s_waitcnt vmcnt(0)
	v_cmp_lt_f64_e32 vcc, s[8:9], v[5:6]
	v_mov_b32_e32 v11, 0
	v_mov_b32_e32 v9, 0
	;; [unrolled: 1-line block ×4, first 2 shown]
	s_and_saveexec_b64 s[4:5], vcc
	s_cbranch_execz .LBB1_7
; %bb.6:
	s_mov_b32 s6, 0x9abcaf48
	s_mov_b32 s7, 0x3e7ad7f2
	v_add_f64 v[5:6], v[5:6], s[6:7]
	v_div_scale_f64 v[9:10], s[6:7], v[5:6], v[5:6], s[8:9]
	v_div_scale_f64 v[18:19], vcc, s[8:9], v[5:6], s[8:9]
	v_rcp_f64_e32 v[14:15], v[9:10]
	v_fma_f64 v[16:17], -v[9:10], v[14:15], 1.0
	v_fma_f64 v[14:15], v[14:15], v[16:17], v[14:15]
	v_fma_f64 v[16:17], -v[9:10], v[14:15], 1.0
	v_fma_f64 v[14:15], v[14:15], v[16:17], v[14:15]
	v_mul_f64 v[16:17], v[18:19], v[14:15]
	v_fma_f64 v[9:10], -v[9:10], v[16:17], v[18:19]
	v_div_fmas_f64 v[9:10], v[9:10], v[14:15], v[16:17]
	v_div_fixup_f64 v[9:10], v[9:10], v[5:6], s[8:9]
.LBB1_7:
	s_or_b64 exec, exec, s[4:5]
	v_cmp_lt_f64_e32 vcc, s[8:9], v[7:8]
	s_and_saveexec_b64 s[4:5], vcc
	s_cbranch_execz .LBB1_9
; %bb.8:
	s_mov_b32 s6, 0x9abcaf48
	s_mov_b32 s7, 0x3e7ad7f2
	v_add_f64 v[5:6], v[7:8], s[6:7]
	v_div_scale_f64 v[7:8], s[6:7], v[5:6], v[5:6], s[8:9]
	v_div_scale_f64 v[16:17], vcc, s[8:9], v[5:6], s[8:9]
	v_rcp_f64_e32 v[11:12], v[7:8]
	v_fma_f64 v[14:15], -v[7:8], v[11:12], 1.0
	v_fma_f64 v[11:12], v[11:12], v[14:15], v[11:12]
	v_fma_f64 v[14:15], -v[7:8], v[11:12], 1.0
	v_fma_f64 v[11:12], v[11:12], v[14:15], v[11:12]
	v_mul_f64 v[14:15], v[16:17], v[11:12]
	v_fma_f64 v[7:8], -v[7:8], v[14:15], v[16:17]
	v_div_fmas_f64 v[7:8], v[7:8], v[11:12], v[14:15]
	v_div_fixup_f64 v[11:12], v[7:8], v[5:6], s[8:9]
.LBB1_9:
	s_or_b64 exec, exec, s[4:5]
	s_add_u32 s0, s10, s0
	s_addc_u32 s1, s11, s1
	global_store_dwordx4 v13, v[1:4], s[0:1]
	global_store_dwordx4 v13, v[9:12], s[0:1] offset:16
	s_mov_b64 s[0:1], 0
.LBB1_10:
	s_and_b64 vcc, exec, s[0:1]
	s_cbranch_vccz .LBB1_37
; %bb.11:
	v_mov_b32_e32 v13, 0
	v_mov_b32_e32 v17, 0
	v_cmp_gt_i32_e64 s[0:1], s14, v0
	v_mov_b32_e32 v14, 0
	v_or_b32_e32 v1, s2, v0
	v_mov_b32_e32 v18, 0
	v_mov_b32_e32 v2, v0
	s_and_saveexec_b64 s[4:5], s[0:1]
	s_cbranch_execz .LBB1_13
; %bb.12:
	v_mov_b32_e32 v2, 0
	v_lshlrev_b64 v[2:3], 3, v[1:2]
	v_mov_b32_e32 v4, s13
	v_add_co_u32_e32 v2, vcc, s12, v2
	v_addc_co_u32_e32 v3, vcc, v4, v3, vcc
	global_load_dwordx2 v[17:18], v[2:3], off
	v_or_b32_e32 v2, 0x100, v0
.LBB1_13:
	s_or_b64 exec, exec, s[4:5]
	v_cmp_gt_i32_e32 vcc, s14, v2
	s_and_saveexec_b64 s[4:5], vcc
	s_cbranch_execz .LBB1_15
; %bb.14:
	v_add_u32_e32 v3, s2, v2
	v_mov_b32_e32 v4, 0
	v_lshlrev_b64 v[3:4], 3, v[3:4]
	v_mov_b32_e32 v5, s13
	v_add_co_u32_e32 v3, vcc, s12, v3
	v_addc_co_u32_e32 v4, vcc, v5, v4, vcc
	global_load_dwordx2 v[13:14], v[3:4], off
	v_add_u32_e32 v2, 0x100, v2
.LBB1_15:
	s_or_b64 exec, exec, s[4:5]
	v_mov_b32_e32 v5, 0
	v_mov_b32_e32 v15, 0
	;; [unrolled: 1-line block ×4, first 2 shown]
	v_cmp_gt_i32_e32 vcc, s14, v2
	s_and_saveexec_b64 s[4:5], vcc
	s_cbranch_execz .LBB1_17
; %bb.16:
	v_add_u32_e32 v3, s2, v2
	v_mov_b32_e32 v4, 0
	v_lshlrev_b64 v[3:4], 3, v[3:4]
	v_mov_b32_e32 v7, s13
	v_add_co_u32_e32 v3, vcc, s12, v3
	v_addc_co_u32_e32 v4, vcc, v7, v4, vcc
	global_load_dwordx2 v[15:16], v[3:4], off
	v_add_u32_e32 v2, 0x100, v2
.LBB1_17:
	s_or_b64 exec, exec, s[4:5]
	v_cmp_gt_i32_e32 vcc, s14, v2
	s_and_saveexec_b64 s[4:5], vcc
	s_cbranch_execz .LBB1_19
; %bb.18:
	v_add_u32_e32 v2, s2, v2
	v_mov_b32_e32 v3, 0
	v_lshlrev_b64 v[2:3], 3, v[2:3]
	v_mov_b32_e32 v4, s13
	v_add_co_u32_e32 v2, vcc, s12, v2
	v_addc_co_u32_e32 v3, vcc, v4, v3, vcc
	global_load_dwordx2 v[5:6], v[2:3], off
.LBB1_19:
	s_or_b64 exec, exec, s[4:5]
	v_mov_b32_e32 v9, 0
	v_mov_b32_e32 v10, v9
	;; [unrolled: 1-line block ×8, first 2 shown]
	s_and_saveexec_b64 s[4:5], s[0:1]
	s_cbranch_execz .LBB1_23
; %bb.20:
	s_waitcnt vmcnt(0)
	v_cmp_lt_f64_e32 vcc, s[8:9], v[17:18]
	v_mov_b32_e32 v9, 0
	v_mov_b32_e32 v10, 0x3ff00000
	s_and_saveexec_b64 s[6:7], vcc
	s_cbranch_execz .LBB1_22
; %bb.21:
	s_mov_b32 s12, 0x9abcaf48
	s_mov_b32 s13, 0x3e7ad7f2
	v_add_f64 v[2:3], v[17:18], s[12:13]
	v_div_scale_f64 v[7:8], s[12:13], v[2:3], v[2:3], s[8:9]
	v_div_scale_f64 v[17:18], vcc, s[8:9], v[2:3], s[8:9]
	v_rcp_f64_e32 v[9:10], v[7:8]
	v_fma_f64 v[11:12], -v[7:8], v[9:10], 1.0
	v_fma_f64 v[9:10], v[9:10], v[11:12], v[9:10]
	v_fma_f64 v[11:12], -v[7:8], v[9:10], 1.0
	v_fma_f64 v[9:10], v[9:10], v[11:12], v[9:10]
	v_mul_f64 v[11:12], v[17:18], v[9:10]
	v_fma_f64 v[7:8], -v[7:8], v[11:12], v[17:18]
	v_div_fmas_f64 v[7:8], v[7:8], v[9:10], v[11:12]
	v_div_fixup_f64 v[9:10], v[7:8], v[2:3], s[8:9]
.LBB1_22:
	s_or_b64 exec, exec, s[6:7]
	v_mov_b32_e32 v11, 0
	v_mov_b32_e32 v12, v11
	;; [unrolled: 1-line block ×6, first 2 shown]
.LBB1_23:
	s_or_b64 exec, exec, s[4:5]
	s_waitcnt vmcnt(0)
	v_or_b32_e32 v17, 0x100, v0
	v_cmp_gt_i32_e32 vcc, s14, v17
	s_and_saveexec_b64 s[4:5], vcc
	s_cbranch_execz .LBB1_27
; %bb.24:
	v_cmp_lt_f64_e32 vcc, s[8:9], v[13:14]
	v_mov_b32_e32 v11, 0
	v_mov_b32_e32 v12, 0x3ff00000
	s_and_saveexec_b64 s[6:7], vcc
	s_cbranch_execz .LBB1_26
; %bb.25:
	s_mov_b32 s12, 0x9abcaf48
	s_mov_b32 s13, 0x3e7ad7f2
	v_add_f64 v[11:12], v[13:14], s[12:13]
	v_div_scale_f64 v[13:14], s[12:13], v[11:12], v[11:12], s[8:9]
	v_div_scale_f64 v[22:23], vcc, s[8:9], v[11:12], s[8:9]
	v_rcp_f64_e32 v[18:19], v[13:14]
	v_fma_f64 v[20:21], -v[13:14], v[18:19], 1.0
	v_fma_f64 v[18:19], v[18:19], v[20:21], v[18:19]
	v_fma_f64 v[20:21], -v[13:14], v[18:19], 1.0
	v_fma_f64 v[18:19], v[18:19], v[20:21], v[18:19]
	v_mul_f64 v[20:21], v[22:23], v[18:19]
	v_fma_f64 v[13:14], -v[13:14], v[20:21], v[22:23]
	v_div_fmas_f64 v[13:14], v[13:14], v[18:19], v[20:21]
	v_div_fixup_f64 v[11:12], v[13:14], v[11:12], s[8:9]
.LBB1_26:
	s_or_b64 exec, exec, s[6:7]
.LBB1_27:
	s_or_b64 exec, exec, s[4:5]
	v_or_b32_e32 v2, 0x200, v0
	v_cmp_gt_i32_e32 vcc, s14, v2
	s_and_saveexec_b64 s[4:5], vcc
	s_cbranch_execz .LBB1_31
; %bb.28:
	v_cmp_lt_f64_e32 vcc, s[8:9], v[15:16]
	v_mov_b32_e32 v7, 0
	v_mov_b32_e32 v8, 0x3ff00000
	s_and_saveexec_b64 s[6:7], vcc
	s_cbranch_execz .LBB1_30
; %bb.29:
	s_mov_b32 s12, 0x9abcaf48
	s_mov_b32 s13, 0x3e7ad7f2
	v_add_f64 v[7:8], v[15:16], s[12:13]
	v_div_scale_f64 v[13:14], s[12:13], v[7:8], v[7:8], s[8:9]
	v_div_scale_f64 v[20:21], vcc, s[8:9], v[7:8], s[8:9]
	v_rcp_f64_e32 v[15:16], v[13:14]
	v_fma_f64 v[18:19], -v[13:14], v[15:16], 1.0
	v_fma_f64 v[15:16], v[15:16], v[18:19], v[15:16]
	v_fma_f64 v[18:19], -v[13:14], v[15:16], 1.0
	v_fma_f64 v[15:16], v[15:16], v[18:19], v[15:16]
	v_mul_f64 v[18:19], v[20:21], v[15:16]
	v_fma_f64 v[13:14], -v[13:14], v[18:19], v[20:21]
	v_div_fmas_f64 v[13:14], v[13:14], v[15:16], v[18:19]
	v_div_fixup_f64 v[7:8], v[13:14], v[7:8], s[8:9]
.LBB1_30:
	s_or_b64 exec, exec, s[6:7]
.LBB1_31:
	s_or_b64 exec, exec, s[4:5]
	v_or_b32_e32 v2, 0x300, v0
	v_cmp_gt_i32_e32 vcc, s14, v2
	s_and_saveexec_b64 s[4:5], vcc
	s_cbranch_execnz .LBB1_38
; %bb.32:
	s_or_b64 exec, exec, s[4:5]
	s_and_saveexec_b64 s[4:5], s[0:1]
	s_xor_b64 s[0:1], exec, s[4:5]
	s_cbranch_execnz .LBB1_41
.LBB1_33:
	s_or_b64 exec, exec, s[0:1]
	v_cmp_gt_i32_e32 vcc, s14, v0
	s_and_saveexec_b64 s[0:1], vcc
	s_cbranch_execnz .LBB1_42
.LBB1_34:
	s_or_b64 exec, exec, s[0:1]
	v_cmp_gt_i32_e32 vcc, s14, v0
	s_and_saveexec_b64 s[0:1], vcc
	s_cbranch_execnz .LBB1_43
.LBB1_35:
	s_or_b64 exec, exec, s[0:1]
	v_cmp_gt_i32_e32 vcc, s14, v0
	s_and_saveexec_b64 s[0:1], vcc
	s_cbranch_execz .LBB1_37
.LBB1_36:
	v_add_u32_e32 v0, s2, v0
	v_mov_b32_e32 v1, 0
	v_lshlrev_b64 v[0:1], 3, v[0:1]
	v_mov_b32_e32 v2, s11
	v_add_co_u32_e32 v0, vcc, s10, v0
	v_addc_co_u32_e32 v1, vcc, v2, v1, vcc
	global_store_dwordx2 v[0:1], v[3:4], off
.LBB1_37:
	s_endpgm
.LBB1_38:
	v_cmp_lt_f64_e32 vcc, s[8:9], v[5:6]
	v_mov_b32_e32 v3, 0
	v_mov_b32_e32 v4, 0x3ff00000
	s_and_saveexec_b64 s[6:7], vcc
	s_cbranch_execz .LBB1_40
; %bb.39:
	s_mov_b32 s12, 0x9abcaf48
	s_mov_b32 s13, 0x3e7ad7f2
	v_add_f64 v[2:3], v[5:6], s[12:13]
	v_div_scale_f64 v[4:5], s[12:13], v[2:3], v[2:3], s[8:9]
	v_div_scale_f64 v[18:19], vcc, s[8:9], v[2:3], s[8:9]
	v_rcp_f64_e32 v[13:14], v[4:5]
	v_fma_f64 v[15:16], -v[4:5], v[13:14], 1.0
	v_fma_f64 v[13:14], v[13:14], v[15:16], v[13:14]
	v_fma_f64 v[15:16], -v[4:5], v[13:14], 1.0
	v_fma_f64 v[13:14], v[13:14], v[15:16], v[13:14]
	v_mul_f64 v[15:16], v[18:19], v[13:14]
	v_fma_f64 v[4:5], -v[4:5], v[15:16], v[18:19]
	v_div_fmas_f64 v[4:5], v[4:5], v[13:14], v[15:16]
	v_div_fixup_f64 v[3:4], v[4:5], v[2:3], s[8:9]
.LBB1_40:
	s_or_b64 exec, exec, s[6:7]
	s_or_b64 exec, exec, s[4:5]
	s_and_saveexec_b64 s[4:5], s[0:1]
	s_xor_b64 s[0:1], exec, s[4:5]
	s_cbranch_execz .LBB1_33
.LBB1_41:
	v_mov_b32_e32 v2, 0
	v_lshlrev_b64 v[0:1], 3, v[1:2]
	v_mov_b32_e32 v2, s11
	v_add_co_u32_e32 v0, vcc, s10, v0
	v_addc_co_u32_e32 v1, vcc, v2, v1, vcc
	global_store_dwordx2 v[0:1], v[9:10], off
	v_mov_b32_e32 v0, v17
	s_or_b64 exec, exec, s[0:1]
	v_cmp_gt_i32_e32 vcc, s14, v0
	s_and_saveexec_b64 s[0:1], vcc
	s_cbranch_execz .LBB1_34
.LBB1_42:
	v_add_u32_e32 v1, s2, v0
	v_mov_b32_e32 v2, 0
	v_lshlrev_b64 v[1:2], 3, v[1:2]
	v_mov_b32_e32 v5, s11
	v_add_co_u32_e32 v1, vcc, s10, v1
	v_addc_co_u32_e32 v2, vcc, v5, v2, vcc
	v_add_u32_e32 v0, 0x100, v0
	global_store_dwordx2 v[1:2], v[11:12], off
	s_or_b64 exec, exec, s[0:1]
	v_cmp_gt_i32_e32 vcc, s14, v0
	s_and_saveexec_b64 s[0:1], vcc
	s_cbranch_execz .LBB1_35
.LBB1_43:
	v_add_u32_e32 v1, s2, v0
	v_mov_b32_e32 v2, 0
	v_lshlrev_b64 v[1:2], 3, v[1:2]
	v_mov_b32_e32 v5, s11
	v_add_co_u32_e32 v1, vcc, s10, v1
	v_addc_co_u32_e32 v2, vcc, v5, v2, vcc
	v_add_u32_e32 v0, 0x100, v0
	global_store_dwordx2 v[1:2], v[7:8], off
	s_or_b64 exec, exec, s[0:1]
	v_cmp_gt_i32_e32 vcc, s14, v0
	s_and_saveexec_b64 s[0:1], vcc
	s_cbranch_execnz .LBB1_36
	s_branch .LBB1_37
	.section	.rodata,"a",@progbits
	.p2align	6, 0x0
	.amdhsa_kernel _ZN2at6native29vectorized_elementwise_kernelILi8EZZZNS0_12_GLOBAL__N_124renorm_scale_factor_implERNS_18TensorIteratorBaseEdENKUlvE_clEvENKUlvE_clEvEUldE_St5arrayIPcLm2EEEEviT0_T1_
		.amdhsa_group_segment_fixed_size 0
		.amdhsa_private_segment_fixed_size 0
		.amdhsa_kernarg_size 32
		.amdhsa_user_sgpr_count 6
		.amdhsa_user_sgpr_private_segment_buffer 1
		.amdhsa_user_sgpr_dispatch_ptr 0
		.amdhsa_user_sgpr_queue_ptr 0
		.amdhsa_user_sgpr_kernarg_segment_ptr 1
		.amdhsa_user_sgpr_dispatch_id 0
		.amdhsa_user_sgpr_flat_scratch_init 0
		.amdhsa_user_sgpr_private_segment_size 0
		.amdhsa_uses_dynamic_stack 0
		.amdhsa_system_sgpr_private_segment_wavefront_offset 0
		.amdhsa_system_sgpr_workgroup_id_x 1
		.amdhsa_system_sgpr_workgroup_id_y 0
		.amdhsa_system_sgpr_workgroup_id_z 0
		.amdhsa_system_sgpr_workgroup_info 0
		.amdhsa_system_vgpr_workitem_id 0
		.amdhsa_next_free_vgpr 24
		.amdhsa_next_free_sgpr 15
		.amdhsa_reserve_vcc 1
		.amdhsa_reserve_flat_scratch 0
		.amdhsa_float_round_mode_32 0
		.amdhsa_float_round_mode_16_64 0
		.amdhsa_float_denorm_mode_32 3
		.amdhsa_float_denorm_mode_16_64 3
		.amdhsa_dx10_clamp 1
		.amdhsa_ieee_mode 1
		.amdhsa_fp16_overflow 0
		.amdhsa_exception_fp_ieee_invalid_op 0
		.amdhsa_exception_fp_denorm_src 0
		.amdhsa_exception_fp_ieee_div_zero 0
		.amdhsa_exception_fp_ieee_overflow 0
		.amdhsa_exception_fp_ieee_underflow 0
		.amdhsa_exception_fp_ieee_inexact 0
		.amdhsa_exception_int_div_zero 0
	.end_amdhsa_kernel
	.section	.text._ZN2at6native29vectorized_elementwise_kernelILi8EZZZNS0_12_GLOBAL__N_124renorm_scale_factor_implERNS_18TensorIteratorBaseEdENKUlvE_clEvENKUlvE_clEvEUldE_St5arrayIPcLm2EEEEviT0_T1_,"axG",@progbits,_ZN2at6native29vectorized_elementwise_kernelILi8EZZZNS0_12_GLOBAL__N_124renorm_scale_factor_implERNS_18TensorIteratorBaseEdENKUlvE_clEvENKUlvE_clEvEUldE_St5arrayIPcLm2EEEEviT0_T1_,comdat
.Lfunc_end1:
	.size	_ZN2at6native29vectorized_elementwise_kernelILi8EZZZNS0_12_GLOBAL__N_124renorm_scale_factor_implERNS_18TensorIteratorBaseEdENKUlvE_clEvENKUlvE_clEvEUldE_St5arrayIPcLm2EEEEviT0_T1_, .Lfunc_end1-_ZN2at6native29vectorized_elementwise_kernelILi8EZZZNS0_12_GLOBAL__N_124renorm_scale_factor_implERNS_18TensorIteratorBaseEdENKUlvE_clEvENKUlvE_clEvEUldE_St5arrayIPcLm2EEEEviT0_T1_
                                        ; -- End function
	.set _ZN2at6native29vectorized_elementwise_kernelILi8EZZZNS0_12_GLOBAL__N_124renorm_scale_factor_implERNS_18TensorIteratorBaseEdENKUlvE_clEvENKUlvE_clEvEUldE_St5arrayIPcLm2EEEEviT0_T1_.num_vgpr, 24
	.set _ZN2at6native29vectorized_elementwise_kernelILi8EZZZNS0_12_GLOBAL__N_124renorm_scale_factor_implERNS_18TensorIteratorBaseEdENKUlvE_clEvENKUlvE_clEvEUldE_St5arrayIPcLm2EEEEviT0_T1_.num_agpr, 0
	.set _ZN2at6native29vectorized_elementwise_kernelILi8EZZZNS0_12_GLOBAL__N_124renorm_scale_factor_implERNS_18TensorIteratorBaseEdENKUlvE_clEvENKUlvE_clEvEUldE_St5arrayIPcLm2EEEEviT0_T1_.numbered_sgpr, 15
	.set _ZN2at6native29vectorized_elementwise_kernelILi8EZZZNS0_12_GLOBAL__N_124renorm_scale_factor_implERNS_18TensorIteratorBaseEdENKUlvE_clEvENKUlvE_clEvEUldE_St5arrayIPcLm2EEEEviT0_T1_.num_named_barrier, 0
	.set _ZN2at6native29vectorized_elementwise_kernelILi8EZZZNS0_12_GLOBAL__N_124renorm_scale_factor_implERNS_18TensorIteratorBaseEdENKUlvE_clEvENKUlvE_clEvEUldE_St5arrayIPcLm2EEEEviT0_T1_.private_seg_size, 0
	.set _ZN2at6native29vectorized_elementwise_kernelILi8EZZZNS0_12_GLOBAL__N_124renorm_scale_factor_implERNS_18TensorIteratorBaseEdENKUlvE_clEvENKUlvE_clEvEUldE_St5arrayIPcLm2EEEEviT0_T1_.uses_vcc, 1
	.set _ZN2at6native29vectorized_elementwise_kernelILi8EZZZNS0_12_GLOBAL__N_124renorm_scale_factor_implERNS_18TensorIteratorBaseEdENKUlvE_clEvENKUlvE_clEvEUldE_St5arrayIPcLm2EEEEviT0_T1_.uses_flat_scratch, 0
	.set _ZN2at6native29vectorized_elementwise_kernelILi8EZZZNS0_12_GLOBAL__N_124renorm_scale_factor_implERNS_18TensorIteratorBaseEdENKUlvE_clEvENKUlvE_clEvEUldE_St5arrayIPcLm2EEEEviT0_T1_.has_dyn_sized_stack, 0
	.set _ZN2at6native29vectorized_elementwise_kernelILi8EZZZNS0_12_GLOBAL__N_124renorm_scale_factor_implERNS_18TensorIteratorBaseEdENKUlvE_clEvENKUlvE_clEvEUldE_St5arrayIPcLm2EEEEviT0_T1_.has_recursion, 0
	.set _ZN2at6native29vectorized_elementwise_kernelILi8EZZZNS0_12_GLOBAL__N_124renorm_scale_factor_implERNS_18TensorIteratorBaseEdENKUlvE_clEvENKUlvE_clEvEUldE_St5arrayIPcLm2EEEEviT0_T1_.has_indirect_call, 0
	.section	.AMDGPU.csdata,"",@progbits
; Kernel info:
; codeLenInByte = 1928
; TotalNumSgprs: 19
; NumVgprs: 24
; ScratchSize: 0
; MemoryBound: 1
; FloatMode: 240
; IeeeMode: 1
; LDSByteSize: 0 bytes/workgroup (compile time only)
; SGPRBlocks: 2
; VGPRBlocks: 5
; NumSGPRsForWavesPerEU: 19
; NumVGPRsForWavesPerEU: 24
; Occupancy: 10
; WaveLimiterHint : 0
; COMPUTE_PGM_RSRC2:SCRATCH_EN: 0
; COMPUTE_PGM_RSRC2:USER_SGPR: 6
; COMPUTE_PGM_RSRC2:TRAP_HANDLER: 0
; COMPUTE_PGM_RSRC2:TGID_X_EN: 1
; COMPUTE_PGM_RSRC2:TGID_Y_EN: 0
; COMPUTE_PGM_RSRC2:TGID_Z_EN: 0
; COMPUTE_PGM_RSRC2:TIDIG_COMP_CNT: 0
	.section	.text._ZN2at6native29vectorized_elementwise_kernelILi4EZZZNS0_12_GLOBAL__N_124renorm_scale_factor_implERNS_18TensorIteratorBaseEdENKUlvE_clEvENKUlvE_clEvEUldE_St5arrayIPcLm2EEEEviT0_T1_,"axG",@progbits,_ZN2at6native29vectorized_elementwise_kernelILi4EZZZNS0_12_GLOBAL__N_124renorm_scale_factor_implERNS_18TensorIteratorBaseEdENKUlvE_clEvENKUlvE_clEvEUldE_St5arrayIPcLm2EEEEviT0_T1_,comdat
	.globl	_ZN2at6native29vectorized_elementwise_kernelILi4EZZZNS0_12_GLOBAL__N_124renorm_scale_factor_implERNS_18TensorIteratorBaseEdENKUlvE_clEvENKUlvE_clEvEUldE_St5arrayIPcLm2EEEEviT0_T1_ ; -- Begin function _ZN2at6native29vectorized_elementwise_kernelILi4EZZZNS0_12_GLOBAL__N_124renorm_scale_factor_implERNS_18TensorIteratorBaseEdENKUlvE_clEvENKUlvE_clEvEUldE_St5arrayIPcLm2EEEEviT0_T1_
	.p2align	8
	.type	_ZN2at6native29vectorized_elementwise_kernelILi4EZZZNS0_12_GLOBAL__N_124renorm_scale_factor_implERNS_18TensorIteratorBaseEdENKUlvE_clEvENKUlvE_clEvEUldE_St5arrayIPcLm2EEEEviT0_T1_,@function
_ZN2at6native29vectorized_elementwise_kernelILi4EZZZNS0_12_GLOBAL__N_124renorm_scale_factor_implERNS_18TensorIteratorBaseEdENKUlvE_clEvENKUlvE_clEvEUldE_St5arrayIPcLm2EEEEviT0_T1_: ; @_ZN2at6native29vectorized_elementwise_kernelILi4EZZZNS0_12_GLOBAL__N_124renorm_scale_factor_implERNS_18TensorIteratorBaseEdENKUlvE_clEvENKUlvE_clEvEUldE_St5arrayIPcLm2EEEEviT0_T1_
; %bb.0:
	s_load_dword s0, s[4:5], 0x0
	s_load_dwordx4 s[8:11], s[4:5], 0x8
	s_load_dwordx2 s[12:13], s[4:5], 0x18
	s_lshl_b32 s2, s6, 10
	s_waitcnt lgkmcnt(0)
	s_sub_i32 s14, s0, s2
	s_cmpk_gt_i32 s14, 0x3ff
	s_mov_b64 s[0:1], -1
	s_cbranch_scc0 .LBB2_10
; %bb.1:
	s_ashr_i32 s3, s2, 31
	s_lshl_b64 s[0:1], s[2:3], 3
	s_add_u32 s4, s12, s0
	s_addc_u32 s5, s13, s1
	v_lshlrev_b32_e32 v13, 5, v0
	global_load_dwordx4 v[9:12], v13, s[4:5]
	global_load_dwordx4 v[5:8], v13, s[4:5] offset:16
	v_mov_b32_e32 v3, 0
	v_mov_b32_e32 v1, 0
	v_mov_b32_e32 v4, 0x3ff00000
	v_mov_b32_e32 v2, 0x3ff00000
	s_waitcnt vmcnt(1)
	v_cmp_lt_f64_e32 vcc, s[8:9], v[9:10]
	s_and_saveexec_b64 s[4:5], vcc
	s_cbranch_execz .LBB2_3
; %bb.2:
	s_mov_b32 s6, 0x9abcaf48
	s_mov_b32 s7, 0x3e7ad7f2
	v_add_f64 v[1:2], v[9:10], s[6:7]
	v_div_scale_f64 v[9:10], s[6:7], v[1:2], v[1:2], s[8:9]
	v_div_scale_f64 v[18:19], vcc, s[8:9], v[1:2], s[8:9]
	v_rcp_f64_e32 v[14:15], v[9:10]
	v_fma_f64 v[16:17], -v[9:10], v[14:15], 1.0
	v_fma_f64 v[14:15], v[14:15], v[16:17], v[14:15]
	v_fma_f64 v[16:17], -v[9:10], v[14:15], 1.0
	v_fma_f64 v[14:15], v[14:15], v[16:17], v[14:15]
	v_mul_f64 v[16:17], v[18:19], v[14:15]
	v_fma_f64 v[9:10], -v[9:10], v[16:17], v[18:19]
	v_div_fmas_f64 v[9:10], v[9:10], v[14:15], v[16:17]
	v_div_fixup_f64 v[1:2], v[9:10], v[1:2], s[8:9]
.LBB2_3:
	s_or_b64 exec, exec, s[4:5]
	v_cmp_lt_f64_e32 vcc, s[8:9], v[11:12]
	s_and_saveexec_b64 s[4:5], vcc
	s_cbranch_execz .LBB2_5
; %bb.4:
	s_mov_b32 s6, 0x9abcaf48
	s_mov_b32 s7, 0x3e7ad7f2
	v_add_f64 v[3:4], v[11:12], s[6:7]
	v_div_scale_f64 v[9:10], s[6:7], v[3:4], v[3:4], s[8:9]
	v_div_scale_f64 v[16:17], vcc, s[8:9], v[3:4], s[8:9]
	v_rcp_f64_e32 v[11:12], v[9:10]
	v_fma_f64 v[14:15], -v[9:10], v[11:12], 1.0
	v_fma_f64 v[11:12], v[11:12], v[14:15], v[11:12]
	v_fma_f64 v[14:15], -v[9:10], v[11:12], 1.0
	v_fma_f64 v[11:12], v[11:12], v[14:15], v[11:12]
	v_mul_f64 v[14:15], v[16:17], v[11:12]
	v_fma_f64 v[9:10], -v[9:10], v[14:15], v[16:17]
	v_div_fmas_f64 v[9:10], v[9:10], v[11:12], v[14:15]
	v_div_fixup_f64 v[3:4], v[9:10], v[3:4], s[8:9]
.LBB2_5:
	s_or_b64 exec, exec, s[4:5]
	s_waitcnt vmcnt(0)
	v_cmp_lt_f64_e32 vcc, s[8:9], v[5:6]
	v_mov_b32_e32 v11, 0
	v_mov_b32_e32 v9, 0
	;; [unrolled: 1-line block ×4, first 2 shown]
	s_and_saveexec_b64 s[4:5], vcc
	s_cbranch_execz .LBB2_7
; %bb.6:
	s_mov_b32 s6, 0x9abcaf48
	s_mov_b32 s7, 0x3e7ad7f2
	v_add_f64 v[5:6], v[5:6], s[6:7]
	v_div_scale_f64 v[9:10], s[6:7], v[5:6], v[5:6], s[8:9]
	v_div_scale_f64 v[18:19], vcc, s[8:9], v[5:6], s[8:9]
	v_rcp_f64_e32 v[14:15], v[9:10]
	v_fma_f64 v[16:17], -v[9:10], v[14:15], 1.0
	v_fma_f64 v[14:15], v[14:15], v[16:17], v[14:15]
	v_fma_f64 v[16:17], -v[9:10], v[14:15], 1.0
	v_fma_f64 v[14:15], v[14:15], v[16:17], v[14:15]
	v_mul_f64 v[16:17], v[18:19], v[14:15]
	v_fma_f64 v[9:10], -v[9:10], v[16:17], v[18:19]
	v_div_fmas_f64 v[9:10], v[9:10], v[14:15], v[16:17]
	v_div_fixup_f64 v[9:10], v[9:10], v[5:6], s[8:9]
.LBB2_7:
	s_or_b64 exec, exec, s[4:5]
	v_cmp_lt_f64_e32 vcc, s[8:9], v[7:8]
	s_and_saveexec_b64 s[4:5], vcc
	s_cbranch_execz .LBB2_9
; %bb.8:
	s_mov_b32 s6, 0x9abcaf48
	s_mov_b32 s7, 0x3e7ad7f2
	v_add_f64 v[5:6], v[7:8], s[6:7]
	v_div_scale_f64 v[7:8], s[6:7], v[5:6], v[5:6], s[8:9]
	v_div_scale_f64 v[16:17], vcc, s[8:9], v[5:6], s[8:9]
	v_rcp_f64_e32 v[11:12], v[7:8]
	v_fma_f64 v[14:15], -v[7:8], v[11:12], 1.0
	v_fma_f64 v[11:12], v[11:12], v[14:15], v[11:12]
	v_fma_f64 v[14:15], -v[7:8], v[11:12], 1.0
	v_fma_f64 v[11:12], v[11:12], v[14:15], v[11:12]
	v_mul_f64 v[14:15], v[16:17], v[11:12]
	v_fma_f64 v[7:8], -v[7:8], v[14:15], v[16:17]
	v_div_fmas_f64 v[7:8], v[7:8], v[11:12], v[14:15]
	v_div_fixup_f64 v[11:12], v[7:8], v[5:6], s[8:9]
.LBB2_9:
	s_or_b64 exec, exec, s[4:5]
	s_add_u32 s0, s10, s0
	s_addc_u32 s1, s11, s1
	global_store_dwordx4 v13, v[1:4], s[0:1]
	global_store_dwordx4 v13, v[9:12], s[0:1] offset:16
	s_mov_b64 s[0:1], 0
.LBB2_10:
	s_and_b64 vcc, exec, s[0:1]
	s_cbranch_vccz .LBB2_37
; %bb.11:
	v_mov_b32_e32 v13, 0
	v_mov_b32_e32 v17, 0
	v_cmp_gt_i32_e64 s[0:1], s14, v0
	v_mov_b32_e32 v14, 0
	v_or_b32_e32 v1, s2, v0
	v_mov_b32_e32 v18, 0
	v_mov_b32_e32 v2, v0
	s_and_saveexec_b64 s[4:5], s[0:1]
	s_cbranch_execz .LBB2_13
; %bb.12:
	v_mov_b32_e32 v2, 0
	v_lshlrev_b64 v[2:3], 3, v[1:2]
	v_mov_b32_e32 v4, s13
	v_add_co_u32_e32 v2, vcc, s12, v2
	v_addc_co_u32_e32 v3, vcc, v4, v3, vcc
	global_load_dwordx2 v[17:18], v[2:3], off
	v_or_b32_e32 v2, 0x100, v0
.LBB2_13:
	s_or_b64 exec, exec, s[4:5]
	v_cmp_gt_i32_e32 vcc, s14, v2
	s_and_saveexec_b64 s[4:5], vcc
	s_cbranch_execz .LBB2_15
; %bb.14:
	v_add_u32_e32 v3, s2, v2
	v_mov_b32_e32 v4, 0
	v_lshlrev_b64 v[3:4], 3, v[3:4]
	v_mov_b32_e32 v5, s13
	v_add_co_u32_e32 v3, vcc, s12, v3
	v_addc_co_u32_e32 v4, vcc, v5, v4, vcc
	global_load_dwordx2 v[13:14], v[3:4], off
	v_add_u32_e32 v2, 0x100, v2
.LBB2_15:
	s_or_b64 exec, exec, s[4:5]
	v_mov_b32_e32 v5, 0
	v_mov_b32_e32 v15, 0
	;; [unrolled: 1-line block ×4, first 2 shown]
	v_cmp_gt_i32_e32 vcc, s14, v2
	s_and_saveexec_b64 s[4:5], vcc
	s_cbranch_execz .LBB2_17
; %bb.16:
	v_add_u32_e32 v3, s2, v2
	v_mov_b32_e32 v4, 0
	v_lshlrev_b64 v[3:4], 3, v[3:4]
	v_mov_b32_e32 v7, s13
	v_add_co_u32_e32 v3, vcc, s12, v3
	v_addc_co_u32_e32 v4, vcc, v7, v4, vcc
	global_load_dwordx2 v[15:16], v[3:4], off
	v_add_u32_e32 v2, 0x100, v2
.LBB2_17:
	s_or_b64 exec, exec, s[4:5]
	v_cmp_gt_i32_e32 vcc, s14, v2
	s_and_saveexec_b64 s[4:5], vcc
	s_cbranch_execz .LBB2_19
; %bb.18:
	v_add_u32_e32 v2, s2, v2
	v_mov_b32_e32 v3, 0
	v_lshlrev_b64 v[2:3], 3, v[2:3]
	v_mov_b32_e32 v4, s13
	v_add_co_u32_e32 v2, vcc, s12, v2
	v_addc_co_u32_e32 v3, vcc, v4, v3, vcc
	global_load_dwordx2 v[5:6], v[2:3], off
.LBB2_19:
	s_or_b64 exec, exec, s[4:5]
	v_mov_b32_e32 v9, 0
	v_mov_b32_e32 v10, v9
	;; [unrolled: 1-line block ×8, first 2 shown]
	s_and_saveexec_b64 s[4:5], s[0:1]
	s_cbranch_execz .LBB2_23
; %bb.20:
	s_waitcnt vmcnt(0)
	v_cmp_lt_f64_e32 vcc, s[8:9], v[17:18]
	v_mov_b32_e32 v9, 0
	v_mov_b32_e32 v10, 0x3ff00000
	s_and_saveexec_b64 s[6:7], vcc
	s_cbranch_execz .LBB2_22
; %bb.21:
	s_mov_b32 s12, 0x9abcaf48
	s_mov_b32 s13, 0x3e7ad7f2
	v_add_f64 v[2:3], v[17:18], s[12:13]
	v_div_scale_f64 v[7:8], s[12:13], v[2:3], v[2:3], s[8:9]
	v_div_scale_f64 v[17:18], vcc, s[8:9], v[2:3], s[8:9]
	v_rcp_f64_e32 v[9:10], v[7:8]
	v_fma_f64 v[11:12], -v[7:8], v[9:10], 1.0
	v_fma_f64 v[9:10], v[9:10], v[11:12], v[9:10]
	v_fma_f64 v[11:12], -v[7:8], v[9:10], 1.0
	v_fma_f64 v[9:10], v[9:10], v[11:12], v[9:10]
	v_mul_f64 v[11:12], v[17:18], v[9:10]
	v_fma_f64 v[7:8], -v[7:8], v[11:12], v[17:18]
	v_div_fmas_f64 v[7:8], v[7:8], v[9:10], v[11:12]
	v_div_fixup_f64 v[9:10], v[7:8], v[2:3], s[8:9]
.LBB2_22:
	s_or_b64 exec, exec, s[6:7]
	v_mov_b32_e32 v11, 0
	v_mov_b32_e32 v12, v11
	;; [unrolled: 1-line block ×6, first 2 shown]
.LBB2_23:
	s_or_b64 exec, exec, s[4:5]
	s_waitcnt vmcnt(0)
	v_or_b32_e32 v17, 0x100, v0
	v_cmp_gt_i32_e32 vcc, s14, v17
	s_and_saveexec_b64 s[4:5], vcc
	s_cbranch_execz .LBB2_27
; %bb.24:
	v_cmp_lt_f64_e32 vcc, s[8:9], v[13:14]
	v_mov_b32_e32 v11, 0
	v_mov_b32_e32 v12, 0x3ff00000
	s_and_saveexec_b64 s[6:7], vcc
	s_cbranch_execz .LBB2_26
; %bb.25:
	s_mov_b32 s12, 0x9abcaf48
	s_mov_b32 s13, 0x3e7ad7f2
	v_add_f64 v[11:12], v[13:14], s[12:13]
	v_div_scale_f64 v[13:14], s[12:13], v[11:12], v[11:12], s[8:9]
	v_div_scale_f64 v[22:23], vcc, s[8:9], v[11:12], s[8:9]
	v_rcp_f64_e32 v[18:19], v[13:14]
	v_fma_f64 v[20:21], -v[13:14], v[18:19], 1.0
	v_fma_f64 v[18:19], v[18:19], v[20:21], v[18:19]
	v_fma_f64 v[20:21], -v[13:14], v[18:19], 1.0
	v_fma_f64 v[18:19], v[18:19], v[20:21], v[18:19]
	v_mul_f64 v[20:21], v[22:23], v[18:19]
	v_fma_f64 v[13:14], -v[13:14], v[20:21], v[22:23]
	v_div_fmas_f64 v[13:14], v[13:14], v[18:19], v[20:21]
	v_div_fixup_f64 v[11:12], v[13:14], v[11:12], s[8:9]
.LBB2_26:
	s_or_b64 exec, exec, s[6:7]
.LBB2_27:
	s_or_b64 exec, exec, s[4:5]
	v_or_b32_e32 v2, 0x200, v0
	v_cmp_gt_i32_e32 vcc, s14, v2
	s_and_saveexec_b64 s[4:5], vcc
	s_cbranch_execz .LBB2_31
; %bb.28:
	v_cmp_lt_f64_e32 vcc, s[8:9], v[15:16]
	v_mov_b32_e32 v7, 0
	v_mov_b32_e32 v8, 0x3ff00000
	s_and_saveexec_b64 s[6:7], vcc
	s_cbranch_execz .LBB2_30
; %bb.29:
	s_mov_b32 s12, 0x9abcaf48
	s_mov_b32 s13, 0x3e7ad7f2
	v_add_f64 v[7:8], v[15:16], s[12:13]
	v_div_scale_f64 v[13:14], s[12:13], v[7:8], v[7:8], s[8:9]
	v_div_scale_f64 v[20:21], vcc, s[8:9], v[7:8], s[8:9]
	v_rcp_f64_e32 v[15:16], v[13:14]
	v_fma_f64 v[18:19], -v[13:14], v[15:16], 1.0
	v_fma_f64 v[15:16], v[15:16], v[18:19], v[15:16]
	v_fma_f64 v[18:19], -v[13:14], v[15:16], 1.0
	v_fma_f64 v[15:16], v[15:16], v[18:19], v[15:16]
	v_mul_f64 v[18:19], v[20:21], v[15:16]
	v_fma_f64 v[13:14], -v[13:14], v[18:19], v[20:21]
	v_div_fmas_f64 v[13:14], v[13:14], v[15:16], v[18:19]
	v_div_fixup_f64 v[7:8], v[13:14], v[7:8], s[8:9]
.LBB2_30:
	s_or_b64 exec, exec, s[6:7]
.LBB2_31:
	s_or_b64 exec, exec, s[4:5]
	v_or_b32_e32 v2, 0x300, v0
	v_cmp_gt_i32_e32 vcc, s14, v2
	s_and_saveexec_b64 s[4:5], vcc
	s_cbranch_execnz .LBB2_38
; %bb.32:
	s_or_b64 exec, exec, s[4:5]
	s_and_saveexec_b64 s[4:5], s[0:1]
	s_xor_b64 s[0:1], exec, s[4:5]
	s_cbranch_execnz .LBB2_41
.LBB2_33:
	s_or_b64 exec, exec, s[0:1]
	v_cmp_gt_i32_e32 vcc, s14, v0
	s_and_saveexec_b64 s[0:1], vcc
	s_cbranch_execnz .LBB2_42
.LBB2_34:
	s_or_b64 exec, exec, s[0:1]
	v_cmp_gt_i32_e32 vcc, s14, v0
	s_and_saveexec_b64 s[0:1], vcc
	s_cbranch_execnz .LBB2_43
.LBB2_35:
	s_or_b64 exec, exec, s[0:1]
	v_cmp_gt_i32_e32 vcc, s14, v0
	s_and_saveexec_b64 s[0:1], vcc
	s_cbranch_execz .LBB2_37
.LBB2_36:
	v_add_u32_e32 v0, s2, v0
	v_mov_b32_e32 v1, 0
	v_lshlrev_b64 v[0:1], 3, v[0:1]
	v_mov_b32_e32 v2, s11
	v_add_co_u32_e32 v0, vcc, s10, v0
	v_addc_co_u32_e32 v1, vcc, v2, v1, vcc
	global_store_dwordx2 v[0:1], v[3:4], off
.LBB2_37:
	s_endpgm
.LBB2_38:
	v_cmp_lt_f64_e32 vcc, s[8:9], v[5:6]
	v_mov_b32_e32 v3, 0
	v_mov_b32_e32 v4, 0x3ff00000
	s_and_saveexec_b64 s[6:7], vcc
	s_cbranch_execz .LBB2_40
; %bb.39:
	s_mov_b32 s12, 0x9abcaf48
	s_mov_b32 s13, 0x3e7ad7f2
	v_add_f64 v[2:3], v[5:6], s[12:13]
	v_div_scale_f64 v[4:5], s[12:13], v[2:3], v[2:3], s[8:9]
	v_div_scale_f64 v[18:19], vcc, s[8:9], v[2:3], s[8:9]
	v_rcp_f64_e32 v[13:14], v[4:5]
	v_fma_f64 v[15:16], -v[4:5], v[13:14], 1.0
	v_fma_f64 v[13:14], v[13:14], v[15:16], v[13:14]
	v_fma_f64 v[15:16], -v[4:5], v[13:14], 1.0
	v_fma_f64 v[13:14], v[13:14], v[15:16], v[13:14]
	v_mul_f64 v[15:16], v[18:19], v[13:14]
	v_fma_f64 v[4:5], -v[4:5], v[15:16], v[18:19]
	v_div_fmas_f64 v[4:5], v[4:5], v[13:14], v[15:16]
	v_div_fixup_f64 v[3:4], v[4:5], v[2:3], s[8:9]
.LBB2_40:
	s_or_b64 exec, exec, s[6:7]
	s_or_b64 exec, exec, s[4:5]
	s_and_saveexec_b64 s[4:5], s[0:1]
	s_xor_b64 s[0:1], exec, s[4:5]
	s_cbranch_execz .LBB2_33
.LBB2_41:
	v_mov_b32_e32 v2, 0
	v_lshlrev_b64 v[0:1], 3, v[1:2]
	v_mov_b32_e32 v2, s11
	v_add_co_u32_e32 v0, vcc, s10, v0
	v_addc_co_u32_e32 v1, vcc, v2, v1, vcc
	global_store_dwordx2 v[0:1], v[9:10], off
	v_mov_b32_e32 v0, v17
	s_or_b64 exec, exec, s[0:1]
	v_cmp_gt_i32_e32 vcc, s14, v0
	s_and_saveexec_b64 s[0:1], vcc
	s_cbranch_execz .LBB2_34
.LBB2_42:
	v_add_u32_e32 v1, s2, v0
	v_mov_b32_e32 v2, 0
	v_lshlrev_b64 v[1:2], 3, v[1:2]
	v_mov_b32_e32 v5, s11
	v_add_co_u32_e32 v1, vcc, s10, v1
	v_addc_co_u32_e32 v2, vcc, v5, v2, vcc
	v_add_u32_e32 v0, 0x100, v0
	global_store_dwordx2 v[1:2], v[11:12], off
	s_or_b64 exec, exec, s[0:1]
	v_cmp_gt_i32_e32 vcc, s14, v0
	s_and_saveexec_b64 s[0:1], vcc
	s_cbranch_execz .LBB2_35
.LBB2_43:
	v_add_u32_e32 v1, s2, v0
	v_mov_b32_e32 v2, 0
	v_lshlrev_b64 v[1:2], 3, v[1:2]
	v_mov_b32_e32 v5, s11
	v_add_co_u32_e32 v1, vcc, s10, v1
	v_addc_co_u32_e32 v2, vcc, v5, v2, vcc
	v_add_u32_e32 v0, 0x100, v0
	global_store_dwordx2 v[1:2], v[7:8], off
	s_or_b64 exec, exec, s[0:1]
	v_cmp_gt_i32_e32 vcc, s14, v0
	s_and_saveexec_b64 s[0:1], vcc
	s_cbranch_execnz .LBB2_36
	s_branch .LBB2_37
	.section	.rodata,"a",@progbits
	.p2align	6, 0x0
	.amdhsa_kernel _ZN2at6native29vectorized_elementwise_kernelILi4EZZZNS0_12_GLOBAL__N_124renorm_scale_factor_implERNS_18TensorIteratorBaseEdENKUlvE_clEvENKUlvE_clEvEUldE_St5arrayIPcLm2EEEEviT0_T1_
		.amdhsa_group_segment_fixed_size 0
		.amdhsa_private_segment_fixed_size 0
		.amdhsa_kernarg_size 32
		.amdhsa_user_sgpr_count 6
		.amdhsa_user_sgpr_private_segment_buffer 1
		.amdhsa_user_sgpr_dispatch_ptr 0
		.amdhsa_user_sgpr_queue_ptr 0
		.amdhsa_user_sgpr_kernarg_segment_ptr 1
		.amdhsa_user_sgpr_dispatch_id 0
		.amdhsa_user_sgpr_flat_scratch_init 0
		.amdhsa_user_sgpr_private_segment_size 0
		.amdhsa_uses_dynamic_stack 0
		.amdhsa_system_sgpr_private_segment_wavefront_offset 0
		.amdhsa_system_sgpr_workgroup_id_x 1
		.amdhsa_system_sgpr_workgroup_id_y 0
		.amdhsa_system_sgpr_workgroup_id_z 0
		.amdhsa_system_sgpr_workgroup_info 0
		.amdhsa_system_vgpr_workitem_id 0
		.amdhsa_next_free_vgpr 24
		.amdhsa_next_free_sgpr 15
		.amdhsa_reserve_vcc 1
		.amdhsa_reserve_flat_scratch 0
		.amdhsa_float_round_mode_32 0
		.amdhsa_float_round_mode_16_64 0
		.amdhsa_float_denorm_mode_32 3
		.amdhsa_float_denorm_mode_16_64 3
		.amdhsa_dx10_clamp 1
		.amdhsa_ieee_mode 1
		.amdhsa_fp16_overflow 0
		.amdhsa_exception_fp_ieee_invalid_op 0
		.amdhsa_exception_fp_denorm_src 0
		.amdhsa_exception_fp_ieee_div_zero 0
		.amdhsa_exception_fp_ieee_overflow 0
		.amdhsa_exception_fp_ieee_underflow 0
		.amdhsa_exception_fp_ieee_inexact 0
		.amdhsa_exception_int_div_zero 0
	.end_amdhsa_kernel
	.section	.text._ZN2at6native29vectorized_elementwise_kernelILi4EZZZNS0_12_GLOBAL__N_124renorm_scale_factor_implERNS_18TensorIteratorBaseEdENKUlvE_clEvENKUlvE_clEvEUldE_St5arrayIPcLm2EEEEviT0_T1_,"axG",@progbits,_ZN2at6native29vectorized_elementwise_kernelILi4EZZZNS0_12_GLOBAL__N_124renorm_scale_factor_implERNS_18TensorIteratorBaseEdENKUlvE_clEvENKUlvE_clEvEUldE_St5arrayIPcLm2EEEEviT0_T1_,comdat
.Lfunc_end2:
	.size	_ZN2at6native29vectorized_elementwise_kernelILi4EZZZNS0_12_GLOBAL__N_124renorm_scale_factor_implERNS_18TensorIteratorBaseEdENKUlvE_clEvENKUlvE_clEvEUldE_St5arrayIPcLm2EEEEviT0_T1_, .Lfunc_end2-_ZN2at6native29vectorized_elementwise_kernelILi4EZZZNS0_12_GLOBAL__N_124renorm_scale_factor_implERNS_18TensorIteratorBaseEdENKUlvE_clEvENKUlvE_clEvEUldE_St5arrayIPcLm2EEEEviT0_T1_
                                        ; -- End function
	.set _ZN2at6native29vectorized_elementwise_kernelILi4EZZZNS0_12_GLOBAL__N_124renorm_scale_factor_implERNS_18TensorIteratorBaseEdENKUlvE_clEvENKUlvE_clEvEUldE_St5arrayIPcLm2EEEEviT0_T1_.num_vgpr, 24
	.set _ZN2at6native29vectorized_elementwise_kernelILi4EZZZNS0_12_GLOBAL__N_124renorm_scale_factor_implERNS_18TensorIteratorBaseEdENKUlvE_clEvENKUlvE_clEvEUldE_St5arrayIPcLm2EEEEviT0_T1_.num_agpr, 0
	.set _ZN2at6native29vectorized_elementwise_kernelILi4EZZZNS0_12_GLOBAL__N_124renorm_scale_factor_implERNS_18TensorIteratorBaseEdENKUlvE_clEvENKUlvE_clEvEUldE_St5arrayIPcLm2EEEEviT0_T1_.numbered_sgpr, 15
	.set _ZN2at6native29vectorized_elementwise_kernelILi4EZZZNS0_12_GLOBAL__N_124renorm_scale_factor_implERNS_18TensorIteratorBaseEdENKUlvE_clEvENKUlvE_clEvEUldE_St5arrayIPcLm2EEEEviT0_T1_.num_named_barrier, 0
	.set _ZN2at6native29vectorized_elementwise_kernelILi4EZZZNS0_12_GLOBAL__N_124renorm_scale_factor_implERNS_18TensorIteratorBaseEdENKUlvE_clEvENKUlvE_clEvEUldE_St5arrayIPcLm2EEEEviT0_T1_.private_seg_size, 0
	.set _ZN2at6native29vectorized_elementwise_kernelILi4EZZZNS0_12_GLOBAL__N_124renorm_scale_factor_implERNS_18TensorIteratorBaseEdENKUlvE_clEvENKUlvE_clEvEUldE_St5arrayIPcLm2EEEEviT0_T1_.uses_vcc, 1
	.set _ZN2at6native29vectorized_elementwise_kernelILi4EZZZNS0_12_GLOBAL__N_124renorm_scale_factor_implERNS_18TensorIteratorBaseEdENKUlvE_clEvENKUlvE_clEvEUldE_St5arrayIPcLm2EEEEviT0_T1_.uses_flat_scratch, 0
	.set _ZN2at6native29vectorized_elementwise_kernelILi4EZZZNS0_12_GLOBAL__N_124renorm_scale_factor_implERNS_18TensorIteratorBaseEdENKUlvE_clEvENKUlvE_clEvEUldE_St5arrayIPcLm2EEEEviT0_T1_.has_dyn_sized_stack, 0
	.set _ZN2at6native29vectorized_elementwise_kernelILi4EZZZNS0_12_GLOBAL__N_124renorm_scale_factor_implERNS_18TensorIteratorBaseEdENKUlvE_clEvENKUlvE_clEvEUldE_St5arrayIPcLm2EEEEviT0_T1_.has_recursion, 0
	.set _ZN2at6native29vectorized_elementwise_kernelILi4EZZZNS0_12_GLOBAL__N_124renorm_scale_factor_implERNS_18TensorIteratorBaseEdENKUlvE_clEvENKUlvE_clEvEUldE_St5arrayIPcLm2EEEEviT0_T1_.has_indirect_call, 0
	.section	.AMDGPU.csdata,"",@progbits
; Kernel info:
; codeLenInByte = 1928
; TotalNumSgprs: 19
; NumVgprs: 24
; ScratchSize: 0
; MemoryBound: 1
; FloatMode: 240
; IeeeMode: 1
; LDSByteSize: 0 bytes/workgroup (compile time only)
; SGPRBlocks: 2
; VGPRBlocks: 5
; NumSGPRsForWavesPerEU: 19
; NumVGPRsForWavesPerEU: 24
; Occupancy: 10
; WaveLimiterHint : 0
; COMPUTE_PGM_RSRC2:SCRATCH_EN: 0
; COMPUTE_PGM_RSRC2:USER_SGPR: 6
; COMPUTE_PGM_RSRC2:TRAP_HANDLER: 0
; COMPUTE_PGM_RSRC2:TGID_X_EN: 1
; COMPUTE_PGM_RSRC2:TGID_Y_EN: 0
; COMPUTE_PGM_RSRC2:TGID_Z_EN: 0
; COMPUTE_PGM_RSRC2:TIDIG_COMP_CNT: 0
	.section	.text._ZN2at6native29vectorized_elementwise_kernelILi2EZZZNS0_12_GLOBAL__N_124renorm_scale_factor_implERNS_18TensorIteratorBaseEdENKUlvE_clEvENKUlvE_clEvEUldE_St5arrayIPcLm2EEEEviT0_T1_,"axG",@progbits,_ZN2at6native29vectorized_elementwise_kernelILi2EZZZNS0_12_GLOBAL__N_124renorm_scale_factor_implERNS_18TensorIteratorBaseEdENKUlvE_clEvENKUlvE_clEvEUldE_St5arrayIPcLm2EEEEviT0_T1_,comdat
	.globl	_ZN2at6native29vectorized_elementwise_kernelILi2EZZZNS0_12_GLOBAL__N_124renorm_scale_factor_implERNS_18TensorIteratorBaseEdENKUlvE_clEvENKUlvE_clEvEUldE_St5arrayIPcLm2EEEEviT0_T1_ ; -- Begin function _ZN2at6native29vectorized_elementwise_kernelILi2EZZZNS0_12_GLOBAL__N_124renorm_scale_factor_implERNS_18TensorIteratorBaseEdENKUlvE_clEvENKUlvE_clEvEUldE_St5arrayIPcLm2EEEEviT0_T1_
	.p2align	8
	.type	_ZN2at6native29vectorized_elementwise_kernelILi2EZZZNS0_12_GLOBAL__N_124renorm_scale_factor_implERNS_18TensorIteratorBaseEdENKUlvE_clEvENKUlvE_clEvEUldE_St5arrayIPcLm2EEEEviT0_T1_,@function
_ZN2at6native29vectorized_elementwise_kernelILi2EZZZNS0_12_GLOBAL__N_124renorm_scale_factor_implERNS_18TensorIteratorBaseEdENKUlvE_clEvENKUlvE_clEvEUldE_St5arrayIPcLm2EEEEviT0_T1_: ; @_ZN2at6native29vectorized_elementwise_kernelILi2EZZZNS0_12_GLOBAL__N_124renorm_scale_factor_implERNS_18TensorIteratorBaseEdENKUlvE_clEvENKUlvE_clEvEUldE_St5arrayIPcLm2EEEEviT0_T1_
; %bb.0:
	s_load_dword s0, s[4:5], 0x0
	s_load_dwordx4 s[8:11], s[4:5], 0x8
	s_load_dwordx2 s[12:13], s[4:5], 0x18
	s_lshl_b32 s2, s6, 10
	s_waitcnt lgkmcnt(0)
	s_sub_i32 s14, s0, s2
	s_cmpk_gt_i32 s14, 0x3ff
	s_mov_b64 s[0:1], -1
	s_cbranch_scc0 .LBB3_10
; %bb.1:
	s_ashr_i32 s3, s2, 31
	s_lshl_b64 s[0:1], s[2:3], 3
	s_add_u32 s4, s12, s0
	s_addc_u32 s5, s13, s1
	v_lshlrev_b32_e32 v13, 4, v0
	global_load_dwordx4 v[9:12], v13, s[4:5]
	v_mov_b32_e32 v1, s5
	v_add_co_u32_e32 v2, vcc, s4, v13
	v_addc_co_u32_e32 v3, vcc, 0, v1, vcc
	v_add_co_u32_e32 v1, vcc, 0x1000, v2
	v_addc_co_u32_e32 v2, vcc, 0, v3, vcc
	global_load_dwordx4 v[5:8], v[1:2], off
	v_mov_b32_e32 v3, 0
	v_mov_b32_e32 v1, 0
	;; [unrolled: 1-line block ×4, first 2 shown]
	s_waitcnt vmcnt(1)
	v_cmp_lt_f64_e32 vcc, s[8:9], v[9:10]
	s_and_saveexec_b64 s[4:5], vcc
	s_cbranch_execz .LBB3_3
; %bb.2:
	s_mov_b32 s6, 0x9abcaf48
	s_mov_b32 s7, 0x3e7ad7f2
	v_add_f64 v[1:2], v[9:10], s[6:7]
	v_div_scale_f64 v[9:10], s[6:7], v[1:2], v[1:2], s[8:9]
	v_div_scale_f64 v[18:19], vcc, s[8:9], v[1:2], s[8:9]
	v_rcp_f64_e32 v[14:15], v[9:10]
	v_fma_f64 v[16:17], -v[9:10], v[14:15], 1.0
	v_fma_f64 v[14:15], v[14:15], v[16:17], v[14:15]
	v_fma_f64 v[16:17], -v[9:10], v[14:15], 1.0
	v_fma_f64 v[14:15], v[14:15], v[16:17], v[14:15]
	v_mul_f64 v[16:17], v[18:19], v[14:15]
	v_fma_f64 v[9:10], -v[9:10], v[16:17], v[18:19]
	v_div_fmas_f64 v[9:10], v[9:10], v[14:15], v[16:17]
	v_div_fixup_f64 v[1:2], v[9:10], v[1:2], s[8:9]
.LBB3_3:
	s_or_b64 exec, exec, s[4:5]
	v_cmp_lt_f64_e32 vcc, s[8:9], v[11:12]
	s_and_saveexec_b64 s[4:5], vcc
	s_cbranch_execz .LBB3_5
; %bb.4:
	s_mov_b32 s6, 0x9abcaf48
	s_mov_b32 s7, 0x3e7ad7f2
	v_add_f64 v[3:4], v[11:12], s[6:7]
	v_div_scale_f64 v[9:10], s[6:7], v[3:4], v[3:4], s[8:9]
	v_div_scale_f64 v[16:17], vcc, s[8:9], v[3:4], s[8:9]
	v_rcp_f64_e32 v[11:12], v[9:10]
	v_fma_f64 v[14:15], -v[9:10], v[11:12], 1.0
	v_fma_f64 v[11:12], v[11:12], v[14:15], v[11:12]
	v_fma_f64 v[14:15], -v[9:10], v[11:12], 1.0
	v_fma_f64 v[11:12], v[11:12], v[14:15], v[11:12]
	v_mul_f64 v[14:15], v[16:17], v[11:12]
	v_fma_f64 v[9:10], -v[9:10], v[14:15], v[16:17]
	v_div_fmas_f64 v[9:10], v[9:10], v[11:12], v[14:15]
	v_div_fixup_f64 v[3:4], v[9:10], v[3:4], s[8:9]
.LBB3_5:
	s_or_b64 exec, exec, s[4:5]
	s_waitcnt vmcnt(0)
	v_cmp_lt_f64_e32 vcc, s[8:9], v[5:6]
	v_mov_b32_e32 v11, 0
	v_mov_b32_e32 v9, 0
	;; [unrolled: 1-line block ×4, first 2 shown]
	s_and_saveexec_b64 s[4:5], vcc
	s_cbranch_execz .LBB3_7
; %bb.6:
	s_mov_b32 s6, 0x9abcaf48
	s_mov_b32 s7, 0x3e7ad7f2
	v_add_f64 v[5:6], v[5:6], s[6:7]
	v_div_scale_f64 v[9:10], s[6:7], v[5:6], v[5:6], s[8:9]
	v_div_scale_f64 v[18:19], vcc, s[8:9], v[5:6], s[8:9]
	v_rcp_f64_e32 v[14:15], v[9:10]
	v_fma_f64 v[16:17], -v[9:10], v[14:15], 1.0
	v_fma_f64 v[14:15], v[14:15], v[16:17], v[14:15]
	v_fma_f64 v[16:17], -v[9:10], v[14:15], 1.0
	v_fma_f64 v[14:15], v[14:15], v[16:17], v[14:15]
	v_mul_f64 v[16:17], v[18:19], v[14:15]
	v_fma_f64 v[9:10], -v[9:10], v[16:17], v[18:19]
	v_div_fmas_f64 v[9:10], v[9:10], v[14:15], v[16:17]
	v_div_fixup_f64 v[9:10], v[9:10], v[5:6], s[8:9]
.LBB3_7:
	s_or_b64 exec, exec, s[4:5]
	v_cmp_lt_f64_e32 vcc, s[8:9], v[7:8]
	s_and_saveexec_b64 s[4:5], vcc
	s_cbranch_execz .LBB3_9
; %bb.8:
	s_mov_b32 s6, 0x9abcaf48
	s_mov_b32 s7, 0x3e7ad7f2
	v_add_f64 v[5:6], v[7:8], s[6:7]
	v_div_scale_f64 v[7:8], s[6:7], v[5:6], v[5:6], s[8:9]
	v_div_scale_f64 v[16:17], vcc, s[8:9], v[5:6], s[8:9]
	v_rcp_f64_e32 v[11:12], v[7:8]
	v_fma_f64 v[14:15], -v[7:8], v[11:12], 1.0
	v_fma_f64 v[11:12], v[11:12], v[14:15], v[11:12]
	v_fma_f64 v[14:15], -v[7:8], v[11:12], 1.0
	v_fma_f64 v[11:12], v[11:12], v[14:15], v[11:12]
	v_mul_f64 v[14:15], v[16:17], v[11:12]
	v_fma_f64 v[7:8], -v[7:8], v[14:15], v[16:17]
	v_div_fmas_f64 v[7:8], v[7:8], v[11:12], v[14:15]
	v_div_fixup_f64 v[11:12], v[7:8], v[5:6], s[8:9]
.LBB3_9:
	s_or_b64 exec, exec, s[4:5]
	s_add_u32 s0, s10, s0
	s_addc_u32 s1, s11, s1
	v_mov_b32_e32 v5, s1
	v_add_co_u32_e32 v6, vcc, s0, v13
	v_addc_co_u32_e32 v5, vcc, 0, v5, vcc
	global_store_dwordx4 v13, v[1:4], s[0:1]
	s_mov_b64 s[0:1], 0
	v_add_co_u32_e32 v1, vcc, 0x1000, v6
	v_addc_co_u32_e32 v2, vcc, 0, v5, vcc
	global_store_dwordx4 v[1:2], v[9:12], off
.LBB3_10:
	s_and_b64 vcc, exec, s[0:1]
	s_cbranch_vccz .LBB3_37
; %bb.11:
	v_mov_b32_e32 v13, 0
	v_mov_b32_e32 v17, 0
	v_cmp_gt_i32_e64 s[0:1], s14, v0
	v_mov_b32_e32 v14, 0
	v_or_b32_e32 v1, s2, v0
	v_mov_b32_e32 v18, 0
	v_mov_b32_e32 v2, v0
	s_and_saveexec_b64 s[4:5], s[0:1]
	s_cbranch_execz .LBB3_13
; %bb.12:
	v_mov_b32_e32 v2, 0
	v_lshlrev_b64 v[2:3], 3, v[1:2]
	v_mov_b32_e32 v4, s13
	v_add_co_u32_e32 v2, vcc, s12, v2
	v_addc_co_u32_e32 v3, vcc, v4, v3, vcc
	global_load_dwordx2 v[17:18], v[2:3], off
	v_or_b32_e32 v2, 0x100, v0
.LBB3_13:
	s_or_b64 exec, exec, s[4:5]
	v_cmp_gt_i32_e32 vcc, s14, v2
	s_and_saveexec_b64 s[4:5], vcc
	s_cbranch_execz .LBB3_15
; %bb.14:
	v_add_u32_e32 v3, s2, v2
	v_mov_b32_e32 v4, 0
	v_lshlrev_b64 v[3:4], 3, v[3:4]
	v_mov_b32_e32 v5, s13
	v_add_co_u32_e32 v3, vcc, s12, v3
	v_addc_co_u32_e32 v4, vcc, v5, v4, vcc
	global_load_dwordx2 v[13:14], v[3:4], off
	v_add_u32_e32 v2, 0x100, v2
.LBB3_15:
	s_or_b64 exec, exec, s[4:5]
	v_mov_b32_e32 v5, 0
	v_mov_b32_e32 v15, 0
	;; [unrolled: 1-line block ×4, first 2 shown]
	v_cmp_gt_i32_e32 vcc, s14, v2
	s_and_saveexec_b64 s[4:5], vcc
	s_cbranch_execz .LBB3_17
; %bb.16:
	v_add_u32_e32 v3, s2, v2
	v_mov_b32_e32 v4, 0
	v_lshlrev_b64 v[3:4], 3, v[3:4]
	v_mov_b32_e32 v7, s13
	v_add_co_u32_e32 v3, vcc, s12, v3
	v_addc_co_u32_e32 v4, vcc, v7, v4, vcc
	global_load_dwordx2 v[15:16], v[3:4], off
	v_add_u32_e32 v2, 0x100, v2
.LBB3_17:
	s_or_b64 exec, exec, s[4:5]
	v_cmp_gt_i32_e32 vcc, s14, v2
	s_and_saveexec_b64 s[4:5], vcc
	s_cbranch_execz .LBB3_19
; %bb.18:
	v_add_u32_e32 v2, s2, v2
	v_mov_b32_e32 v3, 0
	v_lshlrev_b64 v[2:3], 3, v[2:3]
	v_mov_b32_e32 v4, s13
	v_add_co_u32_e32 v2, vcc, s12, v2
	v_addc_co_u32_e32 v3, vcc, v4, v3, vcc
	global_load_dwordx2 v[5:6], v[2:3], off
.LBB3_19:
	s_or_b64 exec, exec, s[4:5]
	v_mov_b32_e32 v9, 0
	v_mov_b32_e32 v10, v9
	;; [unrolled: 1-line block ×8, first 2 shown]
	s_and_saveexec_b64 s[4:5], s[0:1]
	s_cbranch_execz .LBB3_23
; %bb.20:
	s_waitcnt vmcnt(0)
	v_cmp_lt_f64_e32 vcc, s[8:9], v[17:18]
	v_mov_b32_e32 v9, 0
	v_mov_b32_e32 v10, 0x3ff00000
	s_and_saveexec_b64 s[6:7], vcc
	s_cbranch_execz .LBB3_22
; %bb.21:
	s_mov_b32 s12, 0x9abcaf48
	s_mov_b32 s13, 0x3e7ad7f2
	v_add_f64 v[2:3], v[17:18], s[12:13]
	v_div_scale_f64 v[7:8], s[12:13], v[2:3], v[2:3], s[8:9]
	v_div_scale_f64 v[17:18], vcc, s[8:9], v[2:3], s[8:9]
	v_rcp_f64_e32 v[9:10], v[7:8]
	v_fma_f64 v[11:12], -v[7:8], v[9:10], 1.0
	v_fma_f64 v[9:10], v[9:10], v[11:12], v[9:10]
	v_fma_f64 v[11:12], -v[7:8], v[9:10], 1.0
	v_fma_f64 v[9:10], v[9:10], v[11:12], v[9:10]
	v_mul_f64 v[11:12], v[17:18], v[9:10]
	v_fma_f64 v[7:8], -v[7:8], v[11:12], v[17:18]
	v_div_fmas_f64 v[7:8], v[7:8], v[9:10], v[11:12]
	v_div_fixup_f64 v[9:10], v[7:8], v[2:3], s[8:9]
.LBB3_22:
	s_or_b64 exec, exec, s[6:7]
	v_mov_b32_e32 v11, 0
	v_mov_b32_e32 v12, v11
	;; [unrolled: 1-line block ×6, first 2 shown]
.LBB3_23:
	s_or_b64 exec, exec, s[4:5]
	s_waitcnt vmcnt(0)
	v_or_b32_e32 v17, 0x100, v0
	v_cmp_gt_i32_e32 vcc, s14, v17
	s_and_saveexec_b64 s[4:5], vcc
	s_cbranch_execz .LBB3_27
; %bb.24:
	v_cmp_lt_f64_e32 vcc, s[8:9], v[13:14]
	v_mov_b32_e32 v11, 0
	v_mov_b32_e32 v12, 0x3ff00000
	s_and_saveexec_b64 s[6:7], vcc
	s_cbranch_execz .LBB3_26
; %bb.25:
	s_mov_b32 s12, 0x9abcaf48
	s_mov_b32 s13, 0x3e7ad7f2
	v_add_f64 v[11:12], v[13:14], s[12:13]
	v_div_scale_f64 v[13:14], s[12:13], v[11:12], v[11:12], s[8:9]
	v_div_scale_f64 v[22:23], vcc, s[8:9], v[11:12], s[8:9]
	v_rcp_f64_e32 v[18:19], v[13:14]
	v_fma_f64 v[20:21], -v[13:14], v[18:19], 1.0
	v_fma_f64 v[18:19], v[18:19], v[20:21], v[18:19]
	v_fma_f64 v[20:21], -v[13:14], v[18:19], 1.0
	v_fma_f64 v[18:19], v[18:19], v[20:21], v[18:19]
	v_mul_f64 v[20:21], v[22:23], v[18:19]
	v_fma_f64 v[13:14], -v[13:14], v[20:21], v[22:23]
	v_div_fmas_f64 v[13:14], v[13:14], v[18:19], v[20:21]
	v_div_fixup_f64 v[11:12], v[13:14], v[11:12], s[8:9]
.LBB3_26:
	s_or_b64 exec, exec, s[6:7]
.LBB3_27:
	s_or_b64 exec, exec, s[4:5]
	v_or_b32_e32 v2, 0x200, v0
	v_cmp_gt_i32_e32 vcc, s14, v2
	s_and_saveexec_b64 s[4:5], vcc
	s_cbranch_execz .LBB3_31
; %bb.28:
	v_cmp_lt_f64_e32 vcc, s[8:9], v[15:16]
	v_mov_b32_e32 v7, 0
	v_mov_b32_e32 v8, 0x3ff00000
	s_and_saveexec_b64 s[6:7], vcc
	s_cbranch_execz .LBB3_30
; %bb.29:
	s_mov_b32 s12, 0x9abcaf48
	s_mov_b32 s13, 0x3e7ad7f2
	v_add_f64 v[7:8], v[15:16], s[12:13]
	v_div_scale_f64 v[13:14], s[12:13], v[7:8], v[7:8], s[8:9]
	v_div_scale_f64 v[20:21], vcc, s[8:9], v[7:8], s[8:9]
	v_rcp_f64_e32 v[15:16], v[13:14]
	v_fma_f64 v[18:19], -v[13:14], v[15:16], 1.0
	v_fma_f64 v[15:16], v[15:16], v[18:19], v[15:16]
	v_fma_f64 v[18:19], -v[13:14], v[15:16], 1.0
	v_fma_f64 v[15:16], v[15:16], v[18:19], v[15:16]
	v_mul_f64 v[18:19], v[20:21], v[15:16]
	v_fma_f64 v[13:14], -v[13:14], v[18:19], v[20:21]
	v_div_fmas_f64 v[13:14], v[13:14], v[15:16], v[18:19]
	v_div_fixup_f64 v[7:8], v[13:14], v[7:8], s[8:9]
.LBB3_30:
	s_or_b64 exec, exec, s[6:7]
.LBB3_31:
	s_or_b64 exec, exec, s[4:5]
	v_or_b32_e32 v2, 0x300, v0
	v_cmp_gt_i32_e32 vcc, s14, v2
	s_and_saveexec_b64 s[4:5], vcc
	s_cbranch_execnz .LBB3_38
; %bb.32:
	s_or_b64 exec, exec, s[4:5]
	s_and_saveexec_b64 s[4:5], s[0:1]
	s_xor_b64 s[0:1], exec, s[4:5]
	s_cbranch_execnz .LBB3_41
.LBB3_33:
	s_or_b64 exec, exec, s[0:1]
	v_cmp_gt_i32_e32 vcc, s14, v0
	s_and_saveexec_b64 s[0:1], vcc
	s_cbranch_execnz .LBB3_42
.LBB3_34:
	s_or_b64 exec, exec, s[0:1]
	v_cmp_gt_i32_e32 vcc, s14, v0
	s_and_saveexec_b64 s[0:1], vcc
	s_cbranch_execnz .LBB3_43
.LBB3_35:
	s_or_b64 exec, exec, s[0:1]
	v_cmp_gt_i32_e32 vcc, s14, v0
	s_and_saveexec_b64 s[0:1], vcc
	s_cbranch_execz .LBB3_37
.LBB3_36:
	v_add_u32_e32 v0, s2, v0
	v_mov_b32_e32 v1, 0
	v_lshlrev_b64 v[0:1], 3, v[0:1]
	v_mov_b32_e32 v2, s11
	v_add_co_u32_e32 v0, vcc, s10, v0
	v_addc_co_u32_e32 v1, vcc, v2, v1, vcc
	global_store_dwordx2 v[0:1], v[3:4], off
.LBB3_37:
	s_endpgm
.LBB3_38:
	v_cmp_lt_f64_e32 vcc, s[8:9], v[5:6]
	v_mov_b32_e32 v3, 0
	v_mov_b32_e32 v4, 0x3ff00000
	s_and_saveexec_b64 s[6:7], vcc
	s_cbranch_execz .LBB3_40
; %bb.39:
	s_mov_b32 s12, 0x9abcaf48
	s_mov_b32 s13, 0x3e7ad7f2
	v_add_f64 v[2:3], v[5:6], s[12:13]
	v_div_scale_f64 v[4:5], s[12:13], v[2:3], v[2:3], s[8:9]
	v_div_scale_f64 v[18:19], vcc, s[8:9], v[2:3], s[8:9]
	v_rcp_f64_e32 v[13:14], v[4:5]
	v_fma_f64 v[15:16], -v[4:5], v[13:14], 1.0
	v_fma_f64 v[13:14], v[13:14], v[15:16], v[13:14]
	v_fma_f64 v[15:16], -v[4:5], v[13:14], 1.0
	v_fma_f64 v[13:14], v[13:14], v[15:16], v[13:14]
	v_mul_f64 v[15:16], v[18:19], v[13:14]
	v_fma_f64 v[4:5], -v[4:5], v[15:16], v[18:19]
	v_div_fmas_f64 v[4:5], v[4:5], v[13:14], v[15:16]
	v_div_fixup_f64 v[3:4], v[4:5], v[2:3], s[8:9]
.LBB3_40:
	s_or_b64 exec, exec, s[6:7]
	s_or_b64 exec, exec, s[4:5]
	s_and_saveexec_b64 s[4:5], s[0:1]
	s_xor_b64 s[0:1], exec, s[4:5]
	s_cbranch_execz .LBB3_33
.LBB3_41:
	v_mov_b32_e32 v2, 0
	v_lshlrev_b64 v[0:1], 3, v[1:2]
	v_mov_b32_e32 v2, s11
	v_add_co_u32_e32 v0, vcc, s10, v0
	v_addc_co_u32_e32 v1, vcc, v2, v1, vcc
	global_store_dwordx2 v[0:1], v[9:10], off
	v_mov_b32_e32 v0, v17
	s_or_b64 exec, exec, s[0:1]
	v_cmp_gt_i32_e32 vcc, s14, v0
	s_and_saveexec_b64 s[0:1], vcc
	s_cbranch_execz .LBB3_34
.LBB3_42:
	v_add_u32_e32 v1, s2, v0
	v_mov_b32_e32 v2, 0
	v_lshlrev_b64 v[1:2], 3, v[1:2]
	v_mov_b32_e32 v5, s11
	v_add_co_u32_e32 v1, vcc, s10, v1
	v_addc_co_u32_e32 v2, vcc, v5, v2, vcc
	v_add_u32_e32 v0, 0x100, v0
	global_store_dwordx2 v[1:2], v[11:12], off
	s_or_b64 exec, exec, s[0:1]
	v_cmp_gt_i32_e32 vcc, s14, v0
	s_and_saveexec_b64 s[0:1], vcc
	s_cbranch_execz .LBB3_35
.LBB3_43:
	v_add_u32_e32 v1, s2, v0
	v_mov_b32_e32 v2, 0
	v_lshlrev_b64 v[1:2], 3, v[1:2]
	v_mov_b32_e32 v5, s11
	v_add_co_u32_e32 v1, vcc, s10, v1
	v_addc_co_u32_e32 v2, vcc, v5, v2, vcc
	v_add_u32_e32 v0, 0x100, v0
	global_store_dwordx2 v[1:2], v[7:8], off
	s_or_b64 exec, exec, s[0:1]
	v_cmp_gt_i32_e32 vcc, s14, v0
	s_and_saveexec_b64 s[0:1], vcc
	s_cbranch_execnz .LBB3_36
	s_branch .LBB3_37
	.section	.rodata,"a",@progbits
	.p2align	6, 0x0
	.amdhsa_kernel _ZN2at6native29vectorized_elementwise_kernelILi2EZZZNS0_12_GLOBAL__N_124renorm_scale_factor_implERNS_18TensorIteratorBaseEdENKUlvE_clEvENKUlvE_clEvEUldE_St5arrayIPcLm2EEEEviT0_T1_
		.amdhsa_group_segment_fixed_size 0
		.amdhsa_private_segment_fixed_size 0
		.amdhsa_kernarg_size 32
		.amdhsa_user_sgpr_count 6
		.amdhsa_user_sgpr_private_segment_buffer 1
		.amdhsa_user_sgpr_dispatch_ptr 0
		.amdhsa_user_sgpr_queue_ptr 0
		.amdhsa_user_sgpr_kernarg_segment_ptr 1
		.amdhsa_user_sgpr_dispatch_id 0
		.amdhsa_user_sgpr_flat_scratch_init 0
		.amdhsa_user_sgpr_private_segment_size 0
		.amdhsa_uses_dynamic_stack 0
		.amdhsa_system_sgpr_private_segment_wavefront_offset 0
		.amdhsa_system_sgpr_workgroup_id_x 1
		.amdhsa_system_sgpr_workgroup_id_y 0
		.amdhsa_system_sgpr_workgroup_id_z 0
		.amdhsa_system_sgpr_workgroup_info 0
		.amdhsa_system_vgpr_workitem_id 0
		.amdhsa_next_free_vgpr 24
		.amdhsa_next_free_sgpr 15
		.amdhsa_reserve_vcc 1
		.amdhsa_reserve_flat_scratch 0
		.amdhsa_float_round_mode_32 0
		.amdhsa_float_round_mode_16_64 0
		.amdhsa_float_denorm_mode_32 3
		.amdhsa_float_denorm_mode_16_64 3
		.amdhsa_dx10_clamp 1
		.amdhsa_ieee_mode 1
		.amdhsa_fp16_overflow 0
		.amdhsa_exception_fp_ieee_invalid_op 0
		.amdhsa_exception_fp_denorm_src 0
		.amdhsa_exception_fp_ieee_div_zero 0
		.amdhsa_exception_fp_ieee_overflow 0
		.amdhsa_exception_fp_ieee_underflow 0
		.amdhsa_exception_fp_ieee_inexact 0
		.amdhsa_exception_int_div_zero 0
	.end_amdhsa_kernel
	.section	.text._ZN2at6native29vectorized_elementwise_kernelILi2EZZZNS0_12_GLOBAL__N_124renorm_scale_factor_implERNS_18TensorIteratorBaseEdENKUlvE_clEvENKUlvE_clEvEUldE_St5arrayIPcLm2EEEEviT0_T1_,"axG",@progbits,_ZN2at6native29vectorized_elementwise_kernelILi2EZZZNS0_12_GLOBAL__N_124renorm_scale_factor_implERNS_18TensorIteratorBaseEdENKUlvE_clEvENKUlvE_clEvEUldE_St5arrayIPcLm2EEEEviT0_T1_,comdat
.Lfunc_end3:
	.size	_ZN2at6native29vectorized_elementwise_kernelILi2EZZZNS0_12_GLOBAL__N_124renorm_scale_factor_implERNS_18TensorIteratorBaseEdENKUlvE_clEvENKUlvE_clEvEUldE_St5arrayIPcLm2EEEEviT0_T1_, .Lfunc_end3-_ZN2at6native29vectorized_elementwise_kernelILi2EZZZNS0_12_GLOBAL__N_124renorm_scale_factor_implERNS_18TensorIteratorBaseEdENKUlvE_clEvENKUlvE_clEvEUldE_St5arrayIPcLm2EEEEviT0_T1_
                                        ; -- End function
	.set _ZN2at6native29vectorized_elementwise_kernelILi2EZZZNS0_12_GLOBAL__N_124renorm_scale_factor_implERNS_18TensorIteratorBaseEdENKUlvE_clEvENKUlvE_clEvEUldE_St5arrayIPcLm2EEEEviT0_T1_.num_vgpr, 24
	.set _ZN2at6native29vectorized_elementwise_kernelILi2EZZZNS0_12_GLOBAL__N_124renorm_scale_factor_implERNS_18TensorIteratorBaseEdENKUlvE_clEvENKUlvE_clEvEUldE_St5arrayIPcLm2EEEEviT0_T1_.num_agpr, 0
	.set _ZN2at6native29vectorized_elementwise_kernelILi2EZZZNS0_12_GLOBAL__N_124renorm_scale_factor_implERNS_18TensorIteratorBaseEdENKUlvE_clEvENKUlvE_clEvEUldE_St5arrayIPcLm2EEEEviT0_T1_.numbered_sgpr, 15
	.set _ZN2at6native29vectorized_elementwise_kernelILi2EZZZNS0_12_GLOBAL__N_124renorm_scale_factor_implERNS_18TensorIteratorBaseEdENKUlvE_clEvENKUlvE_clEvEUldE_St5arrayIPcLm2EEEEviT0_T1_.num_named_barrier, 0
	.set _ZN2at6native29vectorized_elementwise_kernelILi2EZZZNS0_12_GLOBAL__N_124renorm_scale_factor_implERNS_18TensorIteratorBaseEdENKUlvE_clEvENKUlvE_clEvEUldE_St5arrayIPcLm2EEEEviT0_T1_.private_seg_size, 0
	.set _ZN2at6native29vectorized_elementwise_kernelILi2EZZZNS0_12_GLOBAL__N_124renorm_scale_factor_implERNS_18TensorIteratorBaseEdENKUlvE_clEvENKUlvE_clEvEUldE_St5arrayIPcLm2EEEEviT0_T1_.uses_vcc, 1
	.set _ZN2at6native29vectorized_elementwise_kernelILi2EZZZNS0_12_GLOBAL__N_124renorm_scale_factor_implERNS_18TensorIteratorBaseEdENKUlvE_clEvENKUlvE_clEvEUldE_St5arrayIPcLm2EEEEviT0_T1_.uses_flat_scratch, 0
	.set _ZN2at6native29vectorized_elementwise_kernelILi2EZZZNS0_12_GLOBAL__N_124renorm_scale_factor_implERNS_18TensorIteratorBaseEdENKUlvE_clEvENKUlvE_clEvEUldE_St5arrayIPcLm2EEEEviT0_T1_.has_dyn_sized_stack, 0
	.set _ZN2at6native29vectorized_elementwise_kernelILi2EZZZNS0_12_GLOBAL__N_124renorm_scale_factor_implERNS_18TensorIteratorBaseEdENKUlvE_clEvENKUlvE_clEvEUldE_St5arrayIPcLm2EEEEviT0_T1_.has_recursion, 0
	.set _ZN2at6native29vectorized_elementwise_kernelILi2EZZZNS0_12_GLOBAL__N_124renorm_scale_factor_implERNS_18TensorIteratorBaseEdENKUlvE_clEvENKUlvE_clEvEUldE_St5arrayIPcLm2EEEEviT0_T1_.has_indirect_call, 0
	.section	.AMDGPU.csdata,"",@progbits
; Kernel info:
; codeLenInByte = 1976
; TotalNumSgprs: 19
; NumVgprs: 24
; ScratchSize: 0
; MemoryBound: 0
; FloatMode: 240
; IeeeMode: 1
; LDSByteSize: 0 bytes/workgroup (compile time only)
; SGPRBlocks: 2
; VGPRBlocks: 5
; NumSGPRsForWavesPerEU: 19
; NumVGPRsForWavesPerEU: 24
; Occupancy: 10
; WaveLimiterHint : 1
; COMPUTE_PGM_RSRC2:SCRATCH_EN: 0
; COMPUTE_PGM_RSRC2:USER_SGPR: 6
; COMPUTE_PGM_RSRC2:TRAP_HANDLER: 0
; COMPUTE_PGM_RSRC2:TGID_X_EN: 1
; COMPUTE_PGM_RSRC2:TGID_Y_EN: 0
; COMPUTE_PGM_RSRC2:TGID_Z_EN: 0
; COMPUTE_PGM_RSRC2:TIDIG_COMP_CNT: 0
	.section	.text._ZN2at6native27unrolled_elementwise_kernelIZZZNS0_12_GLOBAL__N_124renorm_scale_factor_implERNS_18TensorIteratorBaseEdENKUlvE_clEvENKUlvE_clEvEUldE_St5arrayIPcLm2EELi4E23TrivialOffsetCalculatorILi1EjESC_NS0_6memory15LoadWithoutCastENSD_16StoreWithoutCastEEEviT_T0_T2_T3_T4_T5_,"axG",@progbits,_ZN2at6native27unrolled_elementwise_kernelIZZZNS0_12_GLOBAL__N_124renorm_scale_factor_implERNS_18TensorIteratorBaseEdENKUlvE_clEvENKUlvE_clEvEUldE_St5arrayIPcLm2EELi4E23TrivialOffsetCalculatorILi1EjESC_NS0_6memory15LoadWithoutCastENSD_16StoreWithoutCastEEEviT_T0_T2_T3_T4_T5_,comdat
	.globl	_ZN2at6native27unrolled_elementwise_kernelIZZZNS0_12_GLOBAL__N_124renorm_scale_factor_implERNS_18TensorIteratorBaseEdENKUlvE_clEvENKUlvE_clEvEUldE_St5arrayIPcLm2EELi4E23TrivialOffsetCalculatorILi1EjESC_NS0_6memory15LoadWithoutCastENSD_16StoreWithoutCastEEEviT_T0_T2_T3_T4_T5_ ; -- Begin function _ZN2at6native27unrolled_elementwise_kernelIZZZNS0_12_GLOBAL__N_124renorm_scale_factor_implERNS_18TensorIteratorBaseEdENKUlvE_clEvENKUlvE_clEvEUldE_St5arrayIPcLm2EELi4E23TrivialOffsetCalculatorILi1EjESC_NS0_6memory15LoadWithoutCastENSD_16StoreWithoutCastEEEviT_T0_T2_T3_T4_T5_
	.p2align	8
	.type	_ZN2at6native27unrolled_elementwise_kernelIZZZNS0_12_GLOBAL__N_124renorm_scale_factor_implERNS_18TensorIteratorBaseEdENKUlvE_clEvENKUlvE_clEvEUldE_St5arrayIPcLm2EELi4E23TrivialOffsetCalculatorILi1EjESC_NS0_6memory15LoadWithoutCastENSD_16StoreWithoutCastEEEviT_T0_T2_T3_T4_T5_,@function
_ZN2at6native27unrolled_elementwise_kernelIZZZNS0_12_GLOBAL__N_124renorm_scale_factor_implERNS_18TensorIteratorBaseEdENKUlvE_clEvENKUlvE_clEvEUldE_St5arrayIPcLm2EELi4E23TrivialOffsetCalculatorILi1EjESC_NS0_6memory15LoadWithoutCastENSD_16StoreWithoutCastEEEviT_T0_T2_T3_T4_T5_: ; @_ZN2at6native27unrolled_elementwise_kernelIZZZNS0_12_GLOBAL__N_124renorm_scale_factor_implERNS_18TensorIteratorBaseEdENKUlvE_clEvENKUlvE_clEvEUldE_St5arrayIPcLm2EELi4E23TrivialOffsetCalculatorILi1EjESC_NS0_6memory15LoadWithoutCastENSD_16StoreWithoutCastEEEviT_T0_T2_T3_T4_T5_
; %bb.0:
	s_load_dword s0, s[4:5], 0x0
	s_load_dwordx2 s[2:3], s[4:5], 0x18
	s_lshl_b32 s12, s6, 10
	v_mov_b32_e32 v13, 0
	v_mov_b32_e32 v17, 0
	s_waitcnt lgkmcnt(0)
	s_sub_i32 s13, s0, s12
	v_cmp_gt_i32_e64 s[0:1], s13, v0
	v_mov_b32_e32 v14, 0
	v_or_b32_e32 v1, s12, v0
	v_mov_b32_e32 v18, 0
	v_mov_b32_e32 v2, v0
	s_and_saveexec_b64 s[6:7], s[0:1]
	s_cbranch_execz .LBB4_2
; %bb.1:
	v_mov_b32_e32 v2, 0
	v_lshlrev_b64 v[2:3], 3, v[1:2]
	v_mov_b32_e32 v4, s3
	v_add_co_u32_e32 v2, vcc, s2, v2
	v_addc_co_u32_e32 v3, vcc, v4, v3, vcc
	global_load_dwordx2 v[17:18], v[2:3], off
	v_or_b32_e32 v2, 0x100, v0
.LBB4_2:
	s_or_b64 exec, exec, s[6:7]
	s_load_dwordx4 s[8:11], s[4:5], 0x8
	v_cmp_gt_i32_e32 vcc, s13, v2
	s_and_saveexec_b64 s[4:5], vcc
	s_cbranch_execz .LBB4_4
; %bb.3:
	v_add_u32_e32 v3, s12, v2
	v_mov_b32_e32 v4, 0
	v_lshlrev_b64 v[3:4], 3, v[3:4]
	v_mov_b32_e32 v5, s3
	v_add_co_u32_e32 v3, vcc, s2, v3
	v_addc_co_u32_e32 v4, vcc, v5, v4, vcc
	global_load_dwordx2 v[13:14], v[3:4], off
	v_add_u32_e32 v2, 0x100, v2
.LBB4_4:
	s_or_b64 exec, exec, s[4:5]
	v_mov_b32_e32 v5, 0
	v_mov_b32_e32 v15, 0
	;; [unrolled: 1-line block ×4, first 2 shown]
	v_cmp_gt_i32_e32 vcc, s13, v2
	s_and_saveexec_b64 s[4:5], vcc
	s_cbranch_execz .LBB4_6
; %bb.5:
	v_add_u32_e32 v3, s12, v2
	v_mov_b32_e32 v4, 0
	v_lshlrev_b64 v[3:4], 3, v[3:4]
	v_mov_b32_e32 v7, s3
	v_add_co_u32_e32 v3, vcc, s2, v3
	v_addc_co_u32_e32 v4, vcc, v7, v4, vcc
	global_load_dwordx2 v[15:16], v[3:4], off
	v_add_u32_e32 v2, 0x100, v2
.LBB4_6:
	s_or_b64 exec, exec, s[4:5]
	v_cmp_gt_i32_e32 vcc, s13, v2
	s_and_saveexec_b64 s[4:5], vcc
	s_cbranch_execz .LBB4_8
; %bb.7:
	v_add_u32_e32 v2, s12, v2
	v_mov_b32_e32 v3, 0
	v_lshlrev_b64 v[2:3], 3, v[2:3]
	v_mov_b32_e32 v4, s3
	v_add_co_u32_e32 v2, vcc, s2, v2
	v_addc_co_u32_e32 v3, vcc, v4, v3, vcc
	global_load_dwordx2 v[5:6], v[2:3], off
.LBB4_8:
	s_or_b64 exec, exec, s[4:5]
	v_mov_b32_e32 v9, 0
	v_mov_b32_e32 v10, v9
	;; [unrolled: 1-line block ×8, first 2 shown]
	s_and_saveexec_b64 s[2:3], s[0:1]
	s_cbranch_execz .LBB4_12
; %bb.9:
	s_waitcnt vmcnt(0) lgkmcnt(0)
	v_cmp_lt_f64_e32 vcc, s[8:9], v[17:18]
	v_mov_b32_e32 v9, 0
	v_mov_b32_e32 v10, 0x3ff00000
	s_and_saveexec_b64 s[4:5], vcc
	s_cbranch_execz .LBB4_11
; %bb.10:
	s_mov_b32 s6, 0x9abcaf48
	s_mov_b32 s7, 0x3e7ad7f2
	v_add_f64 v[2:3], v[17:18], s[6:7]
	v_div_scale_f64 v[7:8], s[6:7], v[2:3], v[2:3], s[8:9]
	v_div_scale_f64 v[17:18], vcc, s[8:9], v[2:3], s[8:9]
	v_rcp_f64_e32 v[9:10], v[7:8]
	v_fma_f64 v[11:12], -v[7:8], v[9:10], 1.0
	v_fma_f64 v[9:10], v[9:10], v[11:12], v[9:10]
	v_fma_f64 v[11:12], -v[7:8], v[9:10], 1.0
	v_fma_f64 v[9:10], v[9:10], v[11:12], v[9:10]
	v_mul_f64 v[11:12], v[17:18], v[9:10]
	v_fma_f64 v[7:8], -v[7:8], v[11:12], v[17:18]
	v_div_fmas_f64 v[7:8], v[7:8], v[9:10], v[11:12]
	v_div_fixup_f64 v[9:10], v[7:8], v[2:3], s[8:9]
.LBB4_11:
	s_or_b64 exec, exec, s[4:5]
	v_mov_b32_e32 v11, 0
	v_mov_b32_e32 v12, v11
	v_mov_b32_e32 v7, v11
	v_mov_b32_e32 v8, v11
	v_mov_b32_e32 v3, v11
	v_mov_b32_e32 v4, v11
.LBB4_12:
	s_or_b64 exec, exec, s[2:3]
	s_waitcnt vmcnt(0)
	v_or_b32_e32 v17, 0x100, v0
	v_cmp_gt_i32_e32 vcc, s13, v17
	s_and_saveexec_b64 s[2:3], vcc
	s_cbranch_execz .LBB4_16
; %bb.13:
	s_waitcnt lgkmcnt(0)
	v_cmp_lt_f64_e32 vcc, s[8:9], v[13:14]
	v_mov_b32_e32 v11, 0
	v_mov_b32_e32 v12, 0x3ff00000
	s_and_saveexec_b64 s[4:5], vcc
	s_cbranch_execz .LBB4_15
; %bb.14:
	s_mov_b32 s6, 0x9abcaf48
	s_mov_b32 s7, 0x3e7ad7f2
	v_add_f64 v[11:12], v[13:14], s[6:7]
	v_div_scale_f64 v[13:14], s[6:7], v[11:12], v[11:12], s[8:9]
	v_div_scale_f64 v[22:23], vcc, s[8:9], v[11:12], s[8:9]
	v_rcp_f64_e32 v[18:19], v[13:14]
	v_fma_f64 v[20:21], -v[13:14], v[18:19], 1.0
	v_fma_f64 v[18:19], v[18:19], v[20:21], v[18:19]
	v_fma_f64 v[20:21], -v[13:14], v[18:19], 1.0
	v_fma_f64 v[18:19], v[18:19], v[20:21], v[18:19]
	v_mul_f64 v[20:21], v[22:23], v[18:19]
	v_fma_f64 v[13:14], -v[13:14], v[20:21], v[22:23]
	v_div_fmas_f64 v[13:14], v[13:14], v[18:19], v[20:21]
	v_div_fixup_f64 v[11:12], v[13:14], v[11:12], s[8:9]
.LBB4_15:
	s_or_b64 exec, exec, s[4:5]
.LBB4_16:
	s_or_b64 exec, exec, s[2:3]
	v_or_b32_e32 v2, 0x200, v0
	v_cmp_gt_i32_e32 vcc, s13, v2
	s_and_saveexec_b64 s[2:3], vcc
	s_cbranch_execz .LBB4_20
; %bb.17:
	s_waitcnt lgkmcnt(0)
	v_cmp_lt_f64_e32 vcc, s[8:9], v[15:16]
	v_mov_b32_e32 v7, 0
	v_mov_b32_e32 v8, 0x3ff00000
	s_and_saveexec_b64 s[4:5], vcc
	s_cbranch_execz .LBB4_19
; %bb.18:
	s_mov_b32 s6, 0x9abcaf48
	s_mov_b32 s7, 0x3e7ad7f2
	v_add_f64 v[7:8], v[15:16], s[6:7]
	v_div_scale_f64 v[13:14], s[6:7], v[7:8], v[7:8], s[8:9]
	v_div_scale_f64 v[20:21], vcc, s[8:9], v[7:8], s[8:9]
	v_rcp_f64_e32 v[15:16], v[13:14]
	v_fma_f64 v[18:19], -v[13:14], v[15:16], 1.0
	v_fma_f64 v[15:16], v[15:16], v[18:19], v[15:16]
	v_fma_f64 v[18:19], -v[13:14], v[15:16], 1.0
	v_fma_f64 v[15:16], v[15:16], v[18:19], v[15:16]
	v_mul_f64 v[18:19], v[20:21], v[15:16]
	v_fma_f64 v[13:14], -v[13:14], v[18:19], v[20:21]
	v_div_fmas_f64 v[13:14], v[13:14], v[15:16], v[18:19]
	v_div_fixup_f64 v[7:8], v[13:14], v[7:8], s[8:9]
.LBB4_19:
	s_or_b64 exec, exec, s[4:5]
.LBB4_20:
	s_or_b64 exec, exec, s[2:3]
	v_or_b32_e32 v2, 0x300, v0
	v_cmp_gt_i32_e32 vcc, s13, v2
	s_and_saveexec_b64 s[2:3], vcc
	s_cbranch_execnz .LBB4_26
; %bb.21:
	s_or_b64 exec, exec, s[2:3]
	s_and_saveexec_b64 s[2:3], s[0:1]
	s_xor_b64 s[0:1], exec, s[2:3]
	s_cbranch_execnz .LBB4_29
.LBB4_22:
	s_or_b64 exec, exec, s[0:1]
	v_cmp_gt_i32_e32 vcc, s13, v0
	s_and_saveexec_b64 s[0:1], vcc
	s_cbranch_execnz .LBB4_30
.LBB4_23:
	s_or_b64 exec, exec, s[0:1]
	v_cmp_gt_i32_e32 vcc, s13, v0
	s_and_saveexec_b64 s[0:1], vcc
	s_cbranch_execnz .LBB4_31
.LBB4_24:
	s_or_b64 exec, exec, s[0:1]
	v_cmp_gt_i32_e32 vcc, s13, v0
	s_and_saveexec_b64 s[0:1], vcc
	s_cbranch_execnz .LBB4_32
.LBB4_25:
	s_endpgm
.LBB4_26:
	s_waitcnt lgkmcnt(0)
	v_cmp_lt_f64_e32 vcc, s[8:9], v[5:6]
	v_mov_b32_e32 v3, 0
	v_mov_b32_e32 v4, 0x3ff00000
	s_and_saveexec_b64 s[4:5], vcc
	s_cbranch_execz .LBB4_28
; %bb.27:
	s_mov_b32 s6, 0x9abcaf48
	s_mov_b32 s7, 0x3e7ad7f2
	v_add_f64 v[2:3], v[5:6], s[6:7]
	v_div_scale_f64 v[4:5], s[6:7], v[2:3], v[2:3], s[8:9]
	v_div_scale_f64 v[18:19], vcc, s[8:9], v[2:3], s[8:9]
	v_rcp_f64_e32 v[13:14], v[4:5]
	v_fma_f64 v[15:16], -v[4:5], v[13:14], 1.0
	v_fma_f64 v[13:14], v[13:14], v[15:16], v[13:14]
	v_fma_f64 v[15:16], -v[4:5], v[13:14], 1.0
	v_fma_f64 v[13:14], v[13:14], v[15:16], v[13:14]
	v_mul_f64 v[15:16], v[18:19], v[13:14]
	v_fma_f64 v[4:5], -v[4:5], v[15:16], v[18:19]
	v_div_fmas_f64 v[4:5], v[4:5], v[13:14], v[15:16]
	v_div_fixup_f64 v[3:4], v[4:5], v[2:3], s[8:9]
.LBB4_28:
	s_or_b64 exec, exec, s[4:5]
	s_or_b64 exec, exec, s[2:3]
	s_and_saveexec_b64 s[2:3], s[0:1]
	s_xor_b64 s[0:1], exec, s[2:3]
	s_cbranch_execz .LBB4_22
.LBB4_29:
	v_mov_b32_e32 v2, 0
	v_lshlrev_b64 v[0:1], 3, v[1:2]
	s_waitcnt lgkmcnt(0)
	v_mov_b32_e32 v2, s11
	v_add_co_u32_e32 v0, vcc, s10, v0
	v_addc_co_u32_e32 v1, vcc, v2, v1, vcc
	global_store_dwordx2 v[0:1], v[9:10], off
	v_mov_b32_e32 v0, v17
	s_or_b64 exec, exec, s[0:1]
	v_cmp_gt_i32_e32 vcc, s13, v0
	s_and_saveexec_b64 s[0:1], vcc
	s_cbranch_execz .LBB4_23
.LBB4_30:
	v_add_u32_e32 v2, 0x100, v0
	v_add_u32_e32 v0, s12, v0
	v_mov_b32_e32 v1, 0
	v_lshlrev_b64 v[0:1], 3, v[0:1]
	s_waitcnt lgkmcnt(0)
	v_mov_b32_e32 v5, s11
	v_add_co_u32_e32 v0, vcc, s10, v0
	v_addc_co_u32_e32 v1, vcc, v5, v1, vcc
	global_store_dwordx2 v[0:1], v[11:12], off
	v_mov_b32_e32 v0, v2
	s_or_b64 exec, exec, s[0:1]
	v_cmp_gt_i32_e32 vcc, s13, v0
	s_and_saveexec_b64 s[0:1], vcc
	s_cbranch_execz .LBB4_24
.LBB4_31:
	v_add_u32_e32 v2, 0x100, v0
	v_add_u32_e32 v0, s12, v0
	v_mov_b32_e32 v1, 0
	v_lshlrev_b64 v[0:1], 3, v[0:1]
	s_waitcnt lgkmcnt(0)
	v_mov_b32_e32 v5, s11
	v_add_co_u32_e32 v0, vcc, s10, v0
	v_addc_co_u32_e32 v1, vcc, v5, v1, vcc
	global_store_dwordx2 v[0:1], v[7:8], off
	v_mov_b32_e32 v0, v2
	s_or_b64 exec, exec, s[0:1]
	v_cmp_gt_i32_e32 vcc, s13, v0
	s_and_saveexec_b64 s[0:1], vcc
	s_cbranch_execz .LBB4_25
.LBB4_32:
	v_add_u32_e32 v0, s12, v0
	v_mov_b32_e32 v1, 0
	v_lshlrev_b64 v[0:1], 3, v[0:1]
	s_waitcnt lgkmcnt(0)
	v_mov_b32_e32 v2, s11
	v_add_co_u32_e32 v0, vcc, s10, v0
	v_addc_co_u32_e32 v1, vcc, v2, v1, vcc
	global_store_dwordx2 v[0:1], v[3:4], off
	s_endpgm
	.section	.rodata,"a",@progbits
	.p2align	6, 0x0
	.amdhsa_kernel _ZN2at6native27unrolled_elementwise_kernelIZZZNS0_12_GLOBAL__N_124renorm_scale_factor_implERNS_18TensorIteratorBaseEdENKUlvE_clEvENKUlvE_clEvEUldE_St5arrayIPcLm2EELi4E23TrivialOffsetCalculatorILi1EjESC_NS0_6memory15LoadWithoutCastENSD_16StoreWithoutCastEEEviT_T0_T2_T3_T4_T5_
		.amdhsa_group_segment_fixed_size 0
		.amdhsa_private_segment_fixed_size 0
		.amdhsa_kernarg_size 36
		.amdhsa_user_sgpr_count 6
		.amdhsa_user_sgpr_private_segment_buffer 1
		.amdhsa_user_sgpr_dispatch_ptr 0
		.amdhsa_user_sgpr_queue_ptr 0
		.amdhsa_user_sgpr_kernarg_segment_ptr 1
		.amdhsa_user_sgpr_dispatch_id 0
		.amdhsa_user_sgpr_flat_scratch_init 0
		.amdhsa_user_sgpr_private_segment_size 0
		.amdhsa_uses_dynamic_stack 0
		.amdhsa_system_sgpr_private_segment_wavefront_offset 0
		.amdhsa_system_sgpr_workgroup_id_x 1
		.amdhsa_system_sgpr_workgroup_id_y 0
		.amdhsa_system_sgpr_workgroup_id_z 0
		.amdhsa_system_sgpr_workgroup_info 0
		.amdhsa_system_vgpr_workitem_id 0
		.amdhsa_next_free_vgpr 24
		.amdhsa_next_free_sgpr 14
		.amdhsa_reserve_vcc 1
		.amdhsa_reserve_flat_scratch 0
		.amdhsa_float_round_mode_32 0
		.amdhsa_float_round_mode_16_64 0
		.amdhsa_float_denorm_mode_32 3
		.amdhsa_float_denorm_mode_16_64 3
		.amdhsa_dx10_clamp 1
		.amdhsa_ieee_mode 1
		.amdhsa_fp16_overflow 0
		.amdhsa_exception_fp_ieee_invalid_op 0
		.amdhsa_exception_fp_denorm_src 0
		.amdhsa_exception_fp_ieee_div_zero 0
		.amdhsa_exception_fp_ieee_overflow 0
		.amdhsa_exception_fp_ieee_underflow 0
		.amdhsa_exception_fp_ieee_inexact 0
		.amdhsa_exception_int_div_zero 0
	.end_amdhsa_kernel
	.section	.text._ZN2at6native27unrolled_elementwise_kernelIZZZNS0_12_GLOBAL__N_124renorm_scale_factor_implERNS_18TensorIteratorBaseEdENKUlvE_clEvENKUlvE_clEvEUldE_St5arrayIPcLm2EELi4E23TrivialOffsetCalculatorILi1EjESC_NS0_6memory15LoadWithoutCastENSD_16StoreWithoutCastEEEviT_T0_T2_T3_T4_T5_,"axG",@progbits,_ZN2at6native27unrolled_elementwise_kernelIZZZNS0_12_GLOBAL__N_124renorm_scale_factor_implERNS_18TensorIteratorBaseEdENKUlvE_clEvENKUlvE_clEvEUldE_St5arrayIPcLm2EELi4E23TrivialOffsetCalculatorILi1EjESC_NS0_6memory15LoadWithoutCastENSD_16StoreWithoutCastEEEviT_T0_T2_T3_T4_T5_,comdat
.Lfunc_end4:
	.size	_ZN2at6native27unrolled_elementwise_kernelIZZZNS0_12_GLOBAL__N_124renorm_scale_factor_implERNS_18TensorIteratorBaseEdENKUlvE_clEvENKUlvE_clEvEUldE_St5arrayIPcLm2EELi4E23TrivialOffsetCalculatorILi1EjESC_NS0_6memory15LoadWithoutCastENSD_16StoreWithoutCastEEEviT_T0_T2_T3_T4_T5_, .Lfunc_end4-_ZN2at6native27unrolled_elementwise_kernelIZZZNS0_12_GLOBAL__N_124renorm_scale_factor_implERNS_18TensorIteratorBaseEdENKUlvE_clEvENKUlvE_clEvEUldE_St5arrayIPcLm2EELi4E23TrivialOffsetCalculatorILi1EjESC_NS0_6memory15LoadWithoutCastENSD_16StoreWithoutCastEEEviT_T0_T2_T3_T4_T5_
                                        ; -- End function
	.set _ZN2at6native27unrolled_elementwise_kernelIZZZNS0_12_GLOBAL__N_124renorm_scale_factor_implERNS_18TensorIteratorBaseEdENKUlvE_clEvENKUlvE_clEvEUldE_St5arrayIPcLm2EELi4E23TrivialOffsetCalculatorILi1EjESC_NS0_6memory15LoadWithoutCastENSD_16StoreWithoutCastEEEviT_T0_T2_T3_T4_T5_.num_vgpr, 24
	.set _ZN2at6native27unrolled_elementwise_kernelIZZZNS0_12_GLOBAL__N_124renorm_scale_factor_implERNS_18TensorIteratorBaseEdENKUlvE_clEvENKUlvE_clEvEUldE_St5arrayIPcLm2EELi4E23TrivialOffsetCalculatorILi1EjESC_NS0_6memory15LoadWithoutCastENSD_16StoreWithoutCastEEEviT_T0_T2_T3_T4_T5_.num_agpr, 0
	.set _ZN2at6native27unrolled_elementwise_kernelIZZZNS0_12_GLOBAL__N_124renorm_scale_factor_implERNS_18TensorIteratorBaseEdENKUlvE_clEvENKUlvE_clEvEUldE_St5arrayIPcLm2EELi4E23TrivialOffsetCalculatorILi1EjESC_NS0_6memory15LoadWithoutCastENSD_16StoreWithoutCastEEEviT_T0_T2_T3_T4_T5_.numbered_sgpr, 14
	.set _ZN2at6native27unrolled_elementwise_kernelIZZZNS0_12_GLOBAL__N_124renorm_scale_factor_implERNS_18TensorIteratorBaseEdENKUlvE_clEvENKUlvE_clEvEUldE_St5arrayIPcLm2EELi4E23TrivialOffsetCalculatorILi1EjESC_NS0_6memory15LoadWithoutCastENSD_16StoreWithoutCastEEEviT_T0_T2_T3_T4_T5_.num_named_barrier, 0
	.set _ZN2at6native27unrolled_elementwise_kernelIZZZNS0_12_GLOBAL__N_124renorm_scale_factor_implERNS_18TensorIteratorBaseEdENKUlvE_clEvENKUlvE_clEvEUldE_St5arrayIPcLm2EELi4E23TrivialOffsetCalculatorILi1EjESC_NS0_6memory15LoadWithoutCastENSD_16StoreWithoutCastEEEviT_T0_T2_T3_T4_T5_.private_seg_size, 0
	.set _ZN2at6native27unrolled_elementwise_kernelIZZZNS0_12_GLOBAL__N_124renorm_scale_factor_implERNS_18TensorIteratorBaseEdENKUlvE_clEvENKUlvE_clEvEUldE_St5arrayIPcLm2EELi4E23TrivialOffsetCalculatorILi1EjESC_NS0_6memory15LoadWithoutCastENSD_16StoreWithoutCastEEEviT_T0_T2_T3_T4_T5_.uses_vcc, 1
	.set _ZN2at6native27unrolled_elementwise_kernelIZZZNS0_12_GLOBAL__N_124renorm_scale_factor_implERNS_18TensorIteratorBaseEdENKUlvE_clEvENKUlvE_clEvEUldE_St5arrayIPcLm2EELi4E23TrivialOffsetCalculatorILi1EjESC_NS0_6memory15LoadWithoutCastENSD_16StoreWithoutCastEEEviT_T0_T2_T3_T4_T5_.uses_flat_scratch, 0
	.set _ZN2at6native27unrolled_elementwise_kernelIZZZNS0_12_GLOBAL__N_124renorm_scale_factor_implERNS_18TensorIteratorBaseEdENKUlvE_clEvENKUlvE_clEvEUldE_St5arrayIPcLm2EELi4E23TrivialOffsetCalculatorILi1EjESC_NS0_6memory15LoadWithoutCastENSD_16StoreWithoutCastEEEviT_T0_T2_T3_T4_T5_.has_dyn_sized_stack, 0
	.set _ZN2at6native27unrolled_elementwise_kernelIZZZNS0_12_GLOBAL__N_124renorm_scale_factor_implERNS_18TensorIteratorBaseEdENKUlvE_clEvENKUlvE_clEvEUldE_St5arrayIPcLm2EELi4E23TrivialOffsetCalculatorILi1EjESC_NS0_6memory15LoadWithoutCastENSD_16StoreWithoutCastEEEviT_T0_T2_T3_T4_T5_.has_recursion, 0
	.set _ZN2at6native27unrolled_elementwise_kernelIZZZNS0_12_GLOBAL__N_124renorm_scale_factor_implERNS_18TensorIteratorBaseEdENKUlvE_clEvENKUlvE_clEvEUldE_St5arrayIPcLm2EELi4E23TrivialOffsetCalculatorILi1EjESC_NS0_6memory15LoadWithoutCastENSD_16StoreWithoutCastEEEviT_T0_T2_T3_T4_T5_.has_indirect_call, 0
	.section	.AMDGPU.csdata,"",@progbits
; Kernel info:
; codeLenInByte = 1328
; TotalNumSgprs: 18
; NumVgprs: 24
; ScratchSize: 0
; MemoryBound: 0
; FloatMode: 240
; IeeeMode: 1
; LDSByteSize: 0 bytes/workgroup (compile time only)
; SGPRBlocks: 2
; VGPRBlocks: 5
; NumSGPRsForWavesPerEU: 18
; NumVGPRsForWavesPerEU: 24
; Occupancy: 10
; WaveLimiterHint : 0
; COMPUTE_PGM_RSRC2:SCRATCH_EN: 0
; COMPUTE_PGM_RSRC2:USER_SGPR: 6
; COMPUTE_PGM_RSRC2:TRAP_HANDLER: 0
; COMPUTE_PGM_RSRC2:TGID_X_EN: 1
; COMPUTE_PGM_RSRC2:TGID_Y_EN: 0
; COMPUTE_PGM_RSRC2:TGID_Z_EN: 0
; COMPUTE_PGM_RSRC2:TIDIG_COMP_CNT: 0
	.section	.text._ZN2at6native32elementwise_kernel_manual_unrollILi128ELi4EZNS0_22gpu_kernel_impl_nocastIZZZNS0_12_GLOBAL__N_124renorm_scale_factor_implERNS_18TensorIteratorBaseEdENKUlvE_clEvENKUlvE_clEvEUldE_EEvS5_RKT_EUlibE_EEviT1_,"axG",@progbits,_ZN2at6native32elementwise_kernel_manual_unrollILi128ELi4EZNS0_22gpu_kernel_impl_nocastIZZZNS0_12_GLOBAL__N_124renorm_scale_factor_implERNS_18TensorIteratorBaseEdENKUlvE_clEvENKUlvE_clEvEUldE_EEvS5_RKT_EUlibE_EEviT1_,comdat
	.globl	_ZN2at6native32elementwise_kernel_manual_unrollILi128ELi4EZNS0_22gpu_kernel_impl_nocastIZZZNS0_12_GLOBAL__N_124renorm_scale_factor_implERNS_18TensorIteratorBaseEdENKUlvE_clEvENKUlvE_clEvEUldE_EEvS5_RKT_EUlibE_EEviT1_ ; -- Begin function _ZN2at6native32elementwise_kernel_manual_unrollILi128ELi4EZNS0_22gpu_kernel_impl_nocastIZZZNS0_12_GLOBAL__N_124renorm_scale_factor_implERNS_18TensorIteratorBaseEdENKUlvE_clEvENKUlvE_clEvEUldE_EEvS5_RKT_EUlibE_EEviT1_
	.p2align	8
	.type	_ZN2at6native32elementwise_kernel_manual_unrollILi128ELi4EZNS0_22gpu_kernel_impl_nocastIZZZNS0_12_GLOBAL__N_124renorm_scale_factor_implERNS_18TensorIteratorBaseEdENKUlvE_clEvENKUlvE_clEvEUldE_EEvS5_RKT_EUlibE_EEviT1_,@function
_ZN2at6native32elementwise_kernel_manual_unrollILi128ELi4EZNS0_22gpu_kernel_impl_nocastIZZZNS0_12_GLOBAL__N_124renorm_scale_factor_implERNS_18TensorIteratorBaseEdENKUlvE_clEvENKUlvE_clEvEUldE_EEvS5_RKT_EUlibE_EEviT1_: ; @_ZN2at6native32elementwise_kernel_manual_unrollILi128ELi4EZNS0_22gpu_kernel_impl_nocastIZZZNS0_12_GLOBAL__N_124renorm_scale_factor_implERNS_18TensorIteratorBaseEdENKUlvE_clEvENKUlvE_clEvEUldE_EEvS5_RKT_EUlibE_EEviT1_
; %bb.0:
	s_load_dword s57, s[4:5], 0x0
	s_load_dword s33, s[4:5], 0x8
	s_add_u32 s34, s4, 8
	s_addc_u32 s35, s5, 0
	v_lshl_or_b32 v7, s6, 9, v0
	v_or_b32_e32 v13, 0x180, v7
	s_waitcnt lgkmcnt(0)
	s_add_i32 s56, s33, -1
	s_cmp_gt_u32 s56, 1
	v_cmp_le_i32_e32 vcc, s57, v13
	s_cselect_b64 s[36:37], -1, 0
	s_and_saveexec_b64 s[0:1], vcc
	s_xor_b64 s[38:39], exec, s[0:1]
	s_cbranch_execz .LBB5_7
; %bb.1:
	s_load_dwordx4 s[20:23], s[34:35], 0x4
	s_load_dwordx2 s[42:43], s[34:35], 0x14
	s_load_dwordx2 s[40:41], s[34:35], 0x158
	s_load_dwordx4 s[24:27], s[34:35], 0xc4
	s_load_dwordx4 s[16:19], s[34:35], 0x148
	s_cmp_lg_u32 s33, 0
	s_cselect_b64 s[48:49], -1, 0
	s_add_u32 s46, s34, 0xc4
	s_addc_u32 s47, s35, 0
	s_min_u32 s58, s56, 15
	s_cmp_gt_u32 s33, 1
	s_cselect_b64 s[44:45], -1, 0
	v_cmp_gt_i32_e32 vcc, s57, v7
	s_and_saveexec_b64 s[50:51], vcc
	s_cbranch_execz .LBB5_14
; %bb.2:
	s_andn2_b64 vcc, exec, s[36:37]
	s_cbranch_vccnz .LBB5_21
; %bb.3:
	s_andn2_b64 vcc, exec, s[48:49]
	s_cbranch_vccnz .LBB5_81
; %bb.4:
	s_add_i32 s60, s58, 1
	s_cmp_eq_u32 s56, 2
	s_cbranch_scc1 .LBB5_83
; %bb.5:
	s_and_b32 s59, s60, 28
	v_mov_b32_e32 v2, 0
	s_mov_b32 s61, 0
	s_mov_b64 s[52:53], s[34:35]
	s_mov_b64 s[54:55], s[46:47]
	v_mov_b32_e32 v0, 0
	v_mov_b32_e32 v1, v7
.LBB5_6:                                ; =>This Inner Loop Header: Depth=1
	s_load_dwordx8 s[8:15], s[52:53], 0x4
	s_load_dwordx4 s[28:31], s[52:53], 0x24
	s_load_dwordx8 s[0:7], s[54:55], 0x0
	s_add_u32 s52, s52, 48
	s_addc_u32 s53, s53, 0
	s_waitcnt lgkmcnt(0)
	v_mul_hi_u32 v3, s9, v1
	s_add_i32 s61, s61, 4
	s_add_u32 s54, s54, 32
	s_addc_u32 s55, s55, 0
	v_add_u32_e32 v3, v1, v3
	v_lshrrev_b32_e32 v3, s10, v3
	v_mul_lo_u32 v4, v3, s8
	v_mul_hi_u32 v5, s12, v3
	s_cmp_lg_u32 s59, s61
	v_sub_u32_e32 v1, v1, v4
	v_add_u32_e32 v4, v3, v5
	v_mul_lo_u32 v5, v1, s0
	v_mul_lo_u32 v6, v1, s1
	v_lshrrev_b32_e32 v1, s13, v4
	v_mul_lo_u32 v4, v1, s11
	v_mul_hi_u32 v8, s15, v1
	v_sub_u32_e32 v3, v3, v4
	v_add_u32_e32 v4, v1, v8
	v_lshrrev_b32_e32 v4, s28, v4
	v_mul_hi_u32 v9, s30, v4
	v_mul_lo_u32 v10, v4, s14
	v_mul_lo_u32 v8, v3, s2
	;; [unrolled: 1-line block ×3, first 2 shown]
	v_sub_u32_e32 v10, v1, v10
	v_add_u32_e32 v1, v4, v9
	v_lshrrev_b32_e32 v1, s31, v1
	v_mul_lo_u32 v9, v1, s29
	v_mul_lo_u32 v11, v10, s4
	;; [unrolled: 1-line block ×3, first 2 shown]
	v_add3_u32 v0, v5, v0, v8
	v_sub_u32_e32 v4, v4, v9
	v_mul_lo_u32 v9, v4, s6
	v_mul_lo_u32 v4, v4, s7
	v_add3_u32 v2, v6, v2, v3
	v_add3_u32 v0, v11, v0, v9
	;; [unrolled: 1-line block ×3, first 2 shown]
	s_cbranch_scc1 .LBB5_6
	s_branch .LBB5_84
.LBB5_7:
	s_andn2_saveexec_b64 s[0:1], s[38:39]
	s_cbranch_execz .LBB5_113
.LBB5_8:
	v_cndmask_b32_e64 v0, 0, 1, s[36:37]
	v_cmp_ne_u32_e64 s[0:1], 1, v0
	s_andn2_b64 vcc, exec, s[36:37]
	s_cbranch_vccnz .LBB5_20
; %bb.9:
	s_cmp_lg_u32 s33, 0
	s_waitcnt lgkmcnt(0)
	s_mov_b32 s26, 0
	s_cbranch_scc0 .LBB5_23
; %bb.10:
	s_min_u32 s27, s56, 15
	s_add_i32 s27, s27, 1
	s_cmp_eq_u32 s56, 2
	s_cbranch_scc1 .LBB5_24
; %bb.11:
	s_and_b32 s26, s27, 28
	s_add_u32 s2, s34, 0xc4
	s_addc_u32 s3, s35, 0
	v_mov_b32_e32 v2, 0
	s_mov_b32 s28, 0
	s_mov_b64 s[24:25], s[34:35]
	v_mov_b32_e32 v0, 0
	v_mov_b32_e32 v1, v7
.LBB5_12:                               ; =>This Inner Loop Header: Depth=1
	s_load_dwordx8 s[12:19], s[24:25], 0x4
	s_load_dwordx4 s[20:23], s[24:25], 0x24
	s_load_dwordx8 s[4:11], s[2:3], 0x0
	s_add_u32 s24, s24, 48
	s_addc_u32 s25, s25, 0
	s_waitcnt lgkmcnt(0)
	v_mul_hi_u32 v3, s13, v1
	s_add_i32 s28, s28, 4
	s_add_u32 s2, s2, 32
	s_addc_u32 s3, s3, 0
	v_add_u32_e32 v3, v1, v3
	v_lshrrev_b32_e32 v3, s14, v3
	v_mul_lo_u32 v4, v3, s12
	v_mul_hi_u32 v5, s16, v3
	s_cmp_lg_u32 s26, s28
	v_sub_u32_e32 v1, v1, v4
	v_add_u32_e32 v4, v3, v5
	v_mul_lo_u32 v5, v1, s4
	v_mul_lo_u32 v6, v1, s5
	v_lshrrev_b32_e32 v1, s17, v4
	v_mul_lo_u32 v4, v1, s15
	v_mul_hi_u32 v8, s19, v1
	v_sub_u32_e32 v3, v3, v4
	v_add_u32_e32 v4, v1, v8
	v_lshrrev_b32_e32 v4, s20, v4
	v_mul_hi_u32 v9, s22, v4
	v_mul_lo_u32 v10, v4, s18
	v_mul_lo_u32 v8, v3, s6
	;; [unrolled: 1-line block ×3, first 2 shown]
	v_sub_u32_e32 v10, v1, v10
	v_add_u32_e32 v1, v4, v9
	v_lshrrev_b32_e32 v1, s23, v1
	v_mul_lo_u32 v9, v1, s21
	v_mul_lo_u32 v11, v10, s8
	;; [unrolled: 1-line block ×3, first 2 shown]
	v_add3_u32 v0, v5, v0, v8
	v_sub_u32_e32 v4, v4, v9
	v_mul_lo_u32 v9, v4, s10
	v_mul_lo_u32 v4, v4, s11
	v_add3_u32 v2, v6, v2, v3
	v_add3_u32 v0, v11, v0, v9
	;; [unrolled: 1-line block ×3, first 2 shown]
	s_cbranch_scc1 .LBB5_12
; %bb.13:
	s_and_b32 s6, s27, 3
	s_cmp_eq_u32 s6, 0
	s_cbranch_scc0 .LBB5_25
	s_branch .LBB5_27
.LBB5_14:
	s_or_b64 exec, exec, s[50:51]
	v_cmp_gt_i32_e32 vcc, s57, v7
	s_and_saveexec_b64 s[50:51], vcc
	s_cbranch_execz .LBB5_93
.LBB5_15:
	s_andn2_b64 vcc, exec, s[36:37]
	s_cbranch_vccnz .LBB5_22
; %bb.16:
	s_andn2_b64 vcc, exec, s[48:49]
	s_cbranch_vccnz .LBB5_82
; %bb.17:
	s_add_i32 s60, s58, 1
	s_cmp_eq_u32 s56, 2
	s_cbranch_scc1 .LBB5_101
; %bb.18:
	s_and_b32 s59, s60, 28
	v_mov_b32_e32 v2, 0
	s_mov_b32 s61, 0
	s_mov_b64 s[52:53], s[34:35]
	s_mov_b64 s[54:55], s[46:47]
	v_mov_b32_e32 v0, 0
	v_mov_b32_e32 v1, v7
.LBB5_19:                               ; =>This Inner Loop Header: Depth=1
	s_load_dwordx8 s[8:15], s[52:53], 0x4
	s_load_dwordx4 s[28:31], s[52:53], 0x24
	s_load_dwordx8 s[0:7], s[54:55], 0x0
	s_add_u32 s52, s52, 48
	s_addc_u32 s53, s53, 0
	s_waitcnt lgkmcnt(0)
	v_mul_hi_u32 v3, s9, v1
	s_add_i32 s61, s61, 4
	s_add_u32 s54, s54, 32
	s_addc_u32 s55, s55, 0
	v_add_u32_e32 v3, v1, v3
	v_lshrrev_b32_e32 v3, s10, v3
	v_mul_lo_u32 v4, v3, s8
	v_mul_hi_u32 v5, s12, v3
	s_cmp_eq_u32 s59, s61
	v_sub_u32_e32 v1, v1, v4
	v_add_u32_e32 v4, v3, v5
	v_mul_lo_u32 v5, v1, s0
	v_mul_lo_u32 v6, v1, s1
	v_lshrrev_b32_e32 v1, s13, v4
	v_mul_lo_u32 v4, v1, s11
	v_mul_hi_u32 v8, s15, v1
	v_sub_u32_e32 v3, v3, v4
	v_add_u32_e32 v4, v1, v8
	v_lshrrev_b32_e32 v4, s28, v4
	v_mul_hi_u32 v9, s30, v4
	v_mul_lo_u32 v10, v4, s14
	v_mul_lo_u32 v8, v3, s2
	;; [unrolled: 1-line block ×3, first 2 shown]
	v_sub_u32_e32 v10, v1, v10
	v_add_u32_e32 v1, v4, v9
	v_lshrrev_b32_e32 v1, s31, v1
	v_mul_lo_u32 v9, v1, s29
	v_mul_lo_u32 v11, v10, s4
	;; [unrolled: 1-line block ×3, first 2 shown]
	v_add3_u32 v0, v5, v0, v8
	v_sub_u32_e32 v4, v4, v9
	v_mul_lo_u32 v9, v4, s6
	v_mul_lo_u32 v4, v4, s7
	v_add3_u32 v2, v6, v2, v3
	v_add3_u32 v0, v11, v0, v9
	v_add3_u32 v2, v10, v2, v4
	s_cbranch_scc0 .LBB5_19
	s_branch .LBB5_102
.LBB5_20:
                                        ; implicit-def: $vgpr0
                                        ; implicit-def: $vgpr2
	s_branch .LBB5_28
.LBB5_21:
                                        ; implicit-def: $vgpr0
                                        ; implicit-def: $vgpr2
	s_branch .LBB5_88
.LBB5_22:
                                        ; implicit-def: $vgpr0
                                        ; implicit-def: $vgpr2
	s_branch .LBB5_106
.LBB5_23:
	v_mov_b32_e32 v0, 0
	v_mov_b32_e32 v2, 0
	s_branch .LBB5_27
.LBB5_24:
	v_mov_b32_e32 v0, 0
	v_mov_b32_e32 v2, 0
	;; [unrolled: 1-line block ×3, first 2 shown]
	s_and_b32 s6, s27, 3
	s_cmp_eq_u32 s6, 0
	s_cbranch_scc1 .LBB5_27
.LBB5_25:
	s_lshl_b32 s2, s26, 3
	s_add_u32 s2, s34, s2
	s_addc_u32 s3, s35, 0
	s_add_u32 s2, s2, 0xc4
	s_addc_u32 s3, s3, 0
	s_mul_i32 s4, s26, 12
	s_add_u32 s4, s34, s4
	s_addc_u32 s5, s35, 0
.LBB5_26:                               ; =>This Inner Loop Header: Depth=1
	s_load_dwordx2 s[8:9], s[4:5], 0x4
	s_load_dword s7, s[4:5], 0xc
	s_load_dwordx2 s[10:11], s[2:3], 0x0
	s_add_u32 s4, s4, 12
	s_addc_u32 s5, s5, 0
	s_waitcnt lgkmcnt(0)
	v_mul_hi_u32 v3, s9, v1
	s_add_u32 s2, s2, 8
	s_addc_u32 s3, s3, 0
	s_add_i32 s6, s6, -1
	v_add_u32_e32 v3, v1, v3
	v_lshrrev_b32_e32 v4, s7, v3
	v_mul_lo_u32 v3, v4, s8
	s_cmp_lg_u32 s6, 0
	v_sub_u32_e32 v3, v1, v3
	v_mad_u64_u32 v[0:1], s[8:9], v3, s10, v[0:1]
	v_mad_u64_u32 v[2:3], s[8:9], v3, s11, v[2:3]
	v_mov_b32_e32 v1, v4
	s_cbranch_scc1 .LBB5_26
.LBB5_27:
	s_cbranch_execnz .LBB5_30
.LBB5_28:
	s_load_dwordx4 s[4:7], s[34:35], 0x4
	s_load_dwordx2 s[2:3], s[34:35], 0xc4
	s_cmp_lt_u32 s33, 2
	s_waitcnt lgkmcnt(0)
	v_mul_hi_u32 v0, s5, v7
	v_add_u32_e32 v0, v7, v0
	v_lshrrev_b32_e32 v1, s6, v0
	v_mul_lo_u32 v0, v1, s4
	v_sub_u32_e32 v2, v7, v0
	v_mul_lo_u32 v0, v2, s2
	v_mul_lo_u32 v2, v2, s3
	s_cbranch_scc1 .LBB5_30
; %bb.29:
	s_load_dwordx4 s[4:7], s[34:35], 0x10
	s_load_dwordx2 s[2:3], s[34:35], 0xcc
	s_waitcnt lgkmcnt(0)
	v_mul_hi_u32 v3, s5, v1
	v_add_u32_e32 v3, v1, v3
	v_lshrrev_b32_e32 v3, s6, v3
	v_mul_lo_u32 v3, v3, s4
	v_sub_u32_e32 v3, v1, v3
	v_mad_u64_u32 v[0:1], s[4:5], v3, s2, v[0:1]
	v_mad_u64_u32 v[2:3], s[2:3], v3, s3, v[2:3]
.LBB5_30:
	s_and_b64 vcc, exec, s[0:1]
	v_add_u32_e32 v1, 0x80, v7
	s_cbranch_vccnz .LBB5_36
; %bb.31:
	s_cmp_lg_u32 s33, 0
	s_waitcnt lgkmcnt(0)
	s_mov_b32 s26, 0
	s_cbranch_scc0 .LBB5_37
; %bb.32:
	s_min_u32 s27, s56, 15
	s_add_i32 s27, s27, 1
	s_cmp_eq_u32 s56, 2
	s_cbranch_scc1 .LBB5_38
; %bb.33:
	s_and_b32 s26, s27, 28
	s_add_u32 s2, s34, 0xc4
	s_addc_u32 s3, s35, 0
	v_mov_b32_e32 v5, 0
	s_mov_b32 s28, 0
	s_mov_b64 s[24:25], s[34:35]
	v_mov_b32_e32 v3, 0
	v_mov_b32_e32 v4, v1
.LBB5_34:                               ; =>This Inner Loop Header: Depth=1
	s_load_dwordx8 s[12:19], s[24:25], 0x4
	s_load_dwordx4 s[20:23], s[24:25], 0x24
	s_load_dwordx8 s[4:11], s[2:3], 0x0
	s_add_u32 s24, s24, 48
	s_addc_u32 s25, s25, 0
	s_waitcnt lgkmcnt(0)
	v_mul_hi_u32 v6, s13, v4
	s_add_i32 s28, s28, 4
	s_add_u32 s2, s2, 32
	s_addc_u32 s3, s3, 0
	v_add_u32_e32 v6, v4, v6
	v_lshrrev_b32_e32 v6, s14, v6
	v_mul_lo_u32 v8, v6, s12
	v_mul_hi_u32 v9, s16, v6
	s_cmp_lg_u32 s26, s28
	v_sub_u32_e32 v4, v4, v8
	v_add_u32_e32 v8, v6, v9
	v_mul_lo_u32 v9, v4, s4
	v_mul_lo_u32 v10, v4, s5
	v_lshrrev_b32_e32 v4, s17, v8
	v_mul_lo_u32 v8, v4, s15
	v_mul_hi_u32 v11, s19, v4
	v_sub_u32_e32 v6, v6, v8
	v_add_u32_e32 v8, v4, v11
	v_lshrrev_b32_e32 v8, s20, v8
	v_mul_hi_u32 v12, s22, v8
	v_mul_lo_u32 v14, v8, s18
	v_mul_lo_u32 v11, v6, s6
	;; [unrolled: 1-line block ×3, first 2 shown]
	v_sub_u32_e32 v14, v4, v14
	v_add_u32_e32 v4, v8, v12
	v_lshrrev_b32_e32 v4, s23, v4
	v_mul_lo_u32 v12, v4, s21
	v_mul_lo_u32 v15, v14, s8
	;; [unrolled: 1-line block ×3, first 2 shown]
	v_add3_u32 v3, v9, v3, v11
	v_sub_u32_e32 v8, v8, v12
	v_mul_lo_u32 v12, v8, s10
	v_mul_lo_u32 v8, v8, s11
	v_add3_u32 v5, v10, v5, v6
	v_add3_u32 v3, v15, v3, v12
	;; [unrolled: 1-line block ×3, first 2 shown]
	s_cbranch_scc1 .LBB5_34
; %bb.35:
	s_and_b32 s6, s27, 3
	s_cmp_eq_u32 s6, 0
	s_cbranch_scc0 .LBB5_39
	s_branch .LBB5_41
.LBB5_36:
                                        ; implicit-def: $vgpr3
                                        ; implicit-def: $vgpr5
	s_branch .LBB5_42
.LBB5_37:
	v_mov_b32_e32 v3, 0
	v_mov_b32_e32 v5, 0
	s_branch .LBB5_41
.LBB5_38:
	v_mov_b32_e32 v3, 0
	v_mov_b32_e32 v5, 0
	;; [unrolled: 1-line block ×3, first 2 shown]
	s_and_b32 s6, s27, 3
	s_cmp_eq_u32 s6, 0
	s_cbranch_scc1 .LBB5_41
.LBB5_39:
	s_lshl_b32 s2, s26, 3
	s_add_u32 s2, s34, s2
	s_addc_u32 s3, s35, 0
	s_add_u32 s2, s2, 0xc4
	s_addc_u32 s3, s3, 0
	s_mul_i32 s4, s26, 12
	s_add_u32 s4, s34, s4
	s_addc_u32 s5, s35, 0
.LBB5_40:                               ; =>This Inner Loop Header: Depth=1
	s_load_dwordx2 s[8:9], s[4:5], 0x4
	s_load_dword s7, s[4:5], 0xc
	s_load_dwordx2 s[10:11], s[2:3], 0x0
	s_add_u32 s4, s4, 12
	s_addc_u32 s5, s5, 0
	s_waitcnt lgkmcnt(0)
	v_mul_hi_u32 v6, s9, v4
	s_add_u32 s2, s2, 8
	s_addc_u32 s3, s3, 0
	s_add_i32 s6, s6, -1
	v_add_u32_e32 v6, v4, v6
	v_lshrrev_b32_e32 v8, s7, v6
	v_mul_lo_u32 v6, v8, s8
	s_cmp_lg_u32 s6, 0
	v_sub_u32_e32 v6, v4, v6
	v_mad_u64_u32 v[3:4], s[8:9], v6, s10, v[3:4]
	v_mad_u64_u32 v[5:6], s[8:9], v6, s11, v[5:6]
	v_mov_b32_e32 v4, v8
	s_cbranch_scc1 .LBB5_40
.LBB5_41:
	s_cbranch_execnz .LBB5_44
.LBB5_42:
	s_load_dwordx4 s[4:7], s[34:35], 0x4
	s_load_dwordx2 s[2:3], s[34:35], 0xc4
	s_cmp_lt_u32 s33, 2
	s_waitcnt lgkmcnt(0)
	v_mul_hi_u32 v3, s5, v1
	v_add_u32_e32 v3, v1, v3
	v_lshrrev_b32_e32 v4, s6, v3
	v_mul_lo_u32 v3, v4, s4
	v_sub_u32_e32 v1, v1, v3
	v_mul_lo_u32 v3, v1, s2
	v_mul_lo_u32 v5, v1, s3
	s_cbranch_scc1 .LBB5_44
; %bb.43:
	s_load_dwordx4 s[4:7], s[34:35], 0x10
	s_load_dwordx2 s[2:3], s[34:35], 0xcc
	s_waitcnt lgkmcnt(0)
	v_mul_hi_u32 v1, s5, v4
	v_add_u32_e32 v1, v4, v1
	v_lshrrev_b32_e32 v1, s6, v1
	v_mul_lo_u32 v1, v1, s4
	v_sub_u32_e32 v1, v4, v1
	v_mad_u64_u32 v[3:4], s[4:5], v1, s2, v[3:4]
	v_mad_u64_u32 v[5:6], s[2:3], v1, s3, v[5:6]
.LBB5_44:
	s_and_b64 vcc, exec, s[0:1]
	v_add_u32_e32 v1, 0x100, v7
	s_cbranch_vccnz .LBB5_50
; %bb.45:
	s_cmp_lg_u32 s33, 0
	s_waitcnt lgkmcnt(0)
	s_mov_b32 s26, 0
	s_cbranch_scc0 .LBB5_51
; %bb.46:
	s_min_u32 s27, s56, 15
	s_add_i32 s27, s27, 1
	s_cmp_eq_u32 s56, 2
	s_cbranch_scc1 .LBB5_52
; %bb.47:
	s_and_b32 s26, s27, 28
	s_add_u32 s2, s34, 0xc4
	s_addc_u32 s3, s35, 0
	v_mov_b32_e32 v8, 0
	s_mov_b32 s28, 0
	s_mov_b64 s[24:25], s[34:35]
	v_mov_b32_e32 v6, 0
	v_mov_b32_e32 v4, v1
.LBB5_48:                               ; =>This Inner Loop Header: Depth=1
	s_load_dwordx8 s[12:19], s[24:25], 0x4
	s_load_dwordx4 s[20:23], s[24:25], 0x24
	s_load_dwordx8 s[4:11], s[2:3], 0x0
	s_add_u32 s24, s24, 48
	s_addc_u32 s25, s25, 0
	s_waitcnt lgkmcnt(0)
	v_mul_hi_u32 v7, s13, v4
	s_add_i32 s28, s28, 4
	s_add_u32 s2, s2, 32
	s_addc_u32 s3, s3, 0
	v_add_u32_e32 v7, v4, v7
	v_lshrrev_b32_e32 v7, s14, v7
	v_mul_lo_u32 v9, v7, s12
	v_mul_hi_u32 v10, s16, v7
	s_cmp_lg_u32 s26, s28
	v_sub_u32_e32 v4, v4, v9
	v_add_u32_e32 v9, v7, v10
	v_mul_lo_u32 v10, v4, s4
	v_mul_lo_u32 v11, v4, s5
	v_lshrrev_b32_e32 v4, s17, v9
	v_mul_lo_u32 v9, v4, s15
	v_mul_hi_u32 v12, s19, v4
	v_sub_u32_e32 v7, v7, v9
	v_add_u32_e32 v9, v4, v12
	v_lshrrev_b32_e32 v9, s20, v9
	v_mul_hi_u32 v14, s22, v9
	v_mul_lo_u32 v15, v9, s18
	v_mul_lo_u32 v12, v7, s6
	;; [unrolled: 1-line block ×3, first 2 shown]
	v_sub_u32_e32 v15, v4, v15
	v_add_u32_e32 v4, v9, v14
	v_lshrrev_b32_e32 v4, s23, v4
	v_mul_lo_u32 v14, v4, s21
	v_mul_lo_u32 v16, v15, s8
	;; [unrolled: 1-line block ×3, first 2 shown]
	v_add3_u32 v6, v10, v6, v12
	v_sub_u32_e32 v9, v9, v14
	v_mul_lo_u32 v14, v9, s10
	v_mul_lo_u32 v9, v9, s11
	v_add3_u32 v7, v11, v8, v7
	v_add3_u32 v6, v16, v6, v14
	;; [unrolled: 1-line block ×3, first 2 shown]
	s_cbranch_scc1 .LBB5_48
; %bb.49:
	s_and_b32 s6, s27, 3
	s_cmp_eq_u32 s6, 0
	s_cbranch_scc0 .LBB5_53
	s_branch .LBB5_55
.LBB5_50:
                                        ; implicit-def: $vgpr6
                                        ; implicit-def: $vgpr8
	s_branch .LBB5_56
.LBB5_51:
	v_mov_b32_e32 v6, 0
	v_mov_b32_e32 v8, 0
	s_branch .LBB5_55
.LBB5_52:
	v_mov_b32_e32 v6, 0
	v_mov_b32_e32 v8, 0
	;; [unrolled: 1-line block ×3, first 2 shown]
	s_and_b32 s6, s27, 3
	s_cmp_eq_u32 s6, 0
	s_cbranch_scc1 .LBB5_55
.LBB5_53:
	s_lshl_b32 s2, s26, 3
	s_add_u32 s2, s34, s2
	s_addc_u32 s3, s35, 0
	s_add_u32 s2, s2, 0xc4
	s_addc_u32 s3, s3, 0
	s_mul_i32 s4, s26, 12
	s_add_u32 s4, s34, s4
	s_addc_u32 s5, s35, 0
.LBB5_54:                               ; =>This Inner Loop Header: Depth=1
	s_load_dwordx2 s[8:9], s[4:5], 0x4
	s_load_dword s7, s[4:5], 0xc
	s_load_dwordx2 s[10:11], s[2:3], 0x0
	s_add_u32 s4, s4, 12
	s_addc_u32 s5, s5, 0
	s_waitcnt lgkmcnt(0)
	v_mul_hi_u32 v7, s9, v4
	s_add_u32 s2, s2, 8
	s_addc_u32 s3, s3, 0
	s_add_i32 s6, s6, -1
	v_add_u32_e32 v7, v4, v7
	v_lshrrev_b32_e32 v10, s7, v7
	v_mul_lo_u32 v7, v10, s8
	s_cmp_lg_u32 s6, 0
	v_sub_u32_e32 v4, v4, v7
	v_mad_u64_u32 v[6:7], s[8:9], v4, s10, v[6:7]
	v_mad_u64_u32 v[8:9], s[8:9], v4, s11, v[8:9]
	v_mov_b32_e32 v4, v10
	s_cbranch_scc1 .LBB5_54
.LBB5_55:
	s_cbranch_execnz .LBB5_58
.LBB5_56:
	s_load_dwordx4 s[4:7], s[34:35], 0x4
	s_load_dwordx2 s[2:3], s[34:35], 0xc4
	s_cmp_lt_u32 s33, 2
	s_waitcnt lgkmcnt(0)
	v_mul_hi_u32 v4, s5, v1
	v_add_u32_e32 v4, v1, v4
	v_lshrrev_b32_e32 v4, s6, v4
	v_mul_lo_u32 v6, v4, s4
	v_sub_u32_e32 v1, v1, v6
	v_mul_lo_u32 v6, v1, s2
	v_mul_lo_u32 v8, v1, s3
	s_cbranch_scc1 .LBB5_58
; %bb.57:
	s_load_dwordx4 s[4:7], s[34:35], 0x10
	s_load_dwordx2 s[2:3], s[34:35], 0xcc
	s_waitcnt lgkmcnt(0)
	v_mul_hi_u32 v1, s5, v4
	v_add_u32_e32 v1, v4, v1
	v_lshrrev_b32_e32 v1, s6, v1
	v_mul_lo_u32 v1, v1, s4
	v_sub_u32_e32 v1, v4, v1
	v_mad_u64_u32 v[6:7], s[4:5], v1, s2, v[6:7]
	v_mad_u64_u32 v[8:9], s[2:3], v1, s3, v[8:9]
.LBB5_58:
	s_and_b64 vcc, exec, s[0:1]
	s_cbranch_vccnz .LBB5_64
; %bb.59:
	s_cmp_lg_u32 s33, 0
	s_waitcnt lgkmcnt(0)
	s_mov_b32 s24, 0
	s_cbranch_scc0 .LBB5_65
; %bb.60:
	s_min_u32 s25, s56, 15
	s_add_i32 s25, s25, 1
	s_cmp_eq_u32 s56, 2
	s_cbranch_scc1 .LBB5_66
; %bb.61:
	s_and_b32 s24, s25, 28
	s_add_u32 s20, s34, 0xc4
	s_addc_u32 s21, s35, 0
	v_mov_b32_e32 v11, 0
	s_mov_b32 s26, 0
	s_mov_b64 s[22:23], s[34:35]
	v_mov_b32_e32 v9, 0
	v_mov_b32_e32 v1, v13
.LBB5_62:                               ; =>This Inner Loop Header: Depth=1
	s_load_dwordx8 s[8:15], s[22:23], 0x4
	s_load_dwordx4 s[16:19], s[22:23], 0x24
	s_load_dwordx8 s[0:7], s[20:21], 0x0
	s_add_u32 s22, s22, 48
	s_addc_u32 s23, s23, 0
	s_waitcnt lgkmcnt(0)
	v_mul_hi_u32 v4, s9, v1
	s_add_i32 s26, s26, 4
	s_add_u32 s20, s20, 32
	s_addc_u32 s21, s21, 0
	v_add_u32_e32 v4, v1, v4
	v_lshrrev_b32_e32 v4, s10, v4
	v_mul_lo_u32 v7, v4, s8
	v_mul_hi_u32 v10, s12, v4
	s_cmp_lg_u32 s24, s26
	v_sub_u32_e32 v1, v1, v7
	v_add_u32_e32 v7, v4, v10
	v_mul_lo_u32 v10, v1, s0
	v_mul_lo_u32 v12, v1, s1
	v_lshrrev_b32_e32 v1, s13, v7
	v_mul_lo_u32 v7, v1, s11
	v_mul_hi_u32 v14, s15, v1
	v_sub_u32_e32 v4, v4, v7
	v_add_u32_e32 v7, v1, v14
	v_lshrrev_b32_e32 v7, s16, v7
	v_mul_hi_u32 v15, s18, v7
	v_mul_lo_u32 v16, v7, s14
	v_mul_lo_u32 v14, v4, s2
	v_mul_lo_u32 v4, v4, s3
	v_sub_u32_e32 v16, v1, v16
	v_add_u32_e32 v1, v7, v15
	v_lshrrev_b32_e32 v1, s19, v1
	v_mul_lo_u32 v15, v1, s17
	v_mul_lo_u32 v17, v16, s4
	;; [unrolled: 1-line block ×3, first 2 shown]
	v_add3_u32 v9, v10, v9, v14
	v_sub_u32_e32 v7, v7, v15
	v_mul_lo_u32 v15, v7, s6
	v_mul_lo_u32 v7, v7, s7
	v_add3_u32 v4, v12, v11, v4
	v_add3_u32 v9, v17, v9, v15
	;; [unrolled: 1-line block ×3, first 2 shown]
	s_cbranch_scc1 .LBB5_62
; %bb.63:
	s_and_b32 s4, s25, 3
	s_cmp_eq_u32 s4, 0
	s_cbranch_scc0 .LBB5_67
	s_branch .LBB5_69
.LBB5_64:
                                        ; implicit-def: $vgpr9
                                        ; implicit-def: $vgpr11
	s_branch .LBB5_70
.LBB5_65:
	v_mov_b32_e32 v9, 0
	v_mov_b32_e32 v11, 0
	s_branch .LBB5_69
.LBB5_66:
	v_mov_b32_e32 v9, 0
	v_mov_b32_e32 v11, 0
	;; [unrolled: 1-line block ×3, first 2 shown]
	s_and_b32 s4, s25, 3
	s_cmp_eq_u32 s4, 0
	s_cbranch_scc1 .LBB5_69
.LBB5_67:
	s_lshl_b32 s0, s24, 3
	s_add_u32 s0, s34, s0
	s_addc_u32 s1, s35, 0
	s_add_u32 s0, s0, 0xc4
	s_addc_u32 s1, s1, 0
	s_mul_i32 s2, s24, 12
	s_add_u32 s2, s34, s2
	s_addc_u32 s3, s35, 0
.LBB5_68:                               ; =>This Inner Loop Header: Depth=1
	s_load_dwordx2 s[6:7], s[2:3], 0x4
	s_load_dword s5, s[2:3], 0xc
	s_load_dwordx2 s[8:9], s[0:1], 0x0
	s_add_u32 s2, s2, 12
	s_addc_u32 s3, s3, 0
	s_waitcnt lgkmcnt(0)
	v_mul_hi_u32 v4, s7, v1
	s_add_u32 s0, s0, 8
	s_addc_u32 s1, s1, 0
	s_add_i32 s4, s4, -1
	v_add_u32_e32 v4, v1, v4
	v_lshrrev_b32_e32 v4, s5, v4
	v_mul_lo_u32 v7, v4, s6
	s_cmp_lg_u32 s4, 0
	v_sub_u32_e32 v1, v1, v7
	v_mad_u64_u32 v[9:10], s[6:7], v1, s8, v[9:10]
	v_mad_u64_u32 v[11:12], s[6:7], v1, s9, v[11:12]
	v_mov_b32_e32 v1, v4
	s_cbranch_scc1 .LBB5_68
.LBB5_69:
	s_cbranch_execnz .LBB5_72
.LBB5_70:
	s_load_dwordx4 s[0:3], s[34:35], 0x4
	s_load_dwordx2 s[4:5], s[34:35], 0xc4
	s_cmp_lt_u32 s33, 2
	s_waitcnt lgkmcnt(0)
	v_mul_hi_u32 v1, s1, v13
	v_add_u32_e32 v1, v13, v1
	v_lshrrev_b32_e32 v1, s2, v1
	v_mul_lo_u32 v4, v1, s0
	v_sub_u32_e32 v4, v13, v4
	v_mul_lo_u32 v9, v4, s4
	v_mul_lo_u32 v11, v4, s5
	s_cbranch_scc1 .LBB5_72
; %bb.71:
	s_load_dwordx4 s[0:3], s[34:35], 0x10
	s_load_dwordx2 s[4:5], s[34:35], 0xcc
	s_waitcnt lgkmcnt(0)
	v_mul_hi_u32 v4, s1, v1
	v_add_u32_e32 v4, v1, v4
	v_lshrrev_b32_e32 v4, s2, v4
	v_mul_lo_u32 v4, v4, s0
	v_sub_u32_e32 v1, v1, v4
	v_mad_u64_u32 v[9:10], s[0:1], v1, s4, v[9:10]
	v_mad_u64_u32 v[11:12], s[0:1], v1, s5, v[11:12]
.LBB5_72:
	s_load_dwordx4 s[0:3], s[34:35], 0x148
	s_load_dwordx2 s[4:5], s[34:35], 0x158
	v_mov_b32_e32 v12, 0
	v_mov_b32_e32 v13, 0x3ff00000
	s_waitcnt lgkmcnt(0)
	global_load_dwordx2 v[14:15], v2, s[2:3]
	v_mov_b32_e32 v1, 0
	v_mov_b32_e32 v2, 0x3ff00000
	s_waitcnt vmcnt(0)
	v_cmp_lt_f64_e32 vcc, s[4:5], v[14:15]
	s_and_saveexec_b64 s[6:7], vcc
	s_cbranch_execz .LBB5_74
; %bb.73:
	s_mov_b32 s8, 0x9abcaf48
	s_mov_b32 s9, 0x3e7ad7f2
	v_add_f64 v[12:13], v[14:15], s[8:9]
	v_div_scale_f64 v[14:15], s[8:9], v[12:13], v[12:13], s[4:5]
	v_div_scale_f64 v[20:21], vcc, s[4:5], v[12:13], s[4:5]
	v_rcp_f64_e32 v[16:17], v[14:15]
	v_fma_f64 v[18:19], -v[14:15], v[16:17], 1.0
	v_fma_f64 v[16:17], v[16:17], v[18:19], v[16:17]
	v_fma_f64 v[18:19], -v[14:15], v[16:17], 1.0
	v_fma_f64 v[16:17], v[16:17], v[18:19], v[16:17]
	v_mul_f64 v[18:19], v[20:21], v[16:17]
	v_fma_f64 v[14:15], -v[14:15], v[18:19], v[20:21]
	v_div_fmas_f64 v[14:15], v[14:15], v[16:17], v[18:19]
	v_div_fixup_f64 v[12:13], v[14:15], v[12:13], s[4:5]
.LBB5_74:
	s_or_b64 exec, exec, s[6:7]
	global_load_dwordx2 v[4:5], v5, s[2:3]
	s_waitcnt vmcnt(0)
	v_cmp_lt_f64_e32 vcc, s[4:5], v[4:5]
	s_and_saveexec_b64 s[6:7], vcc
	s_cbranch_execz .LBB5_76
; %bb.75:
	s_mov_b32 s8, 0x9abcaf48
	s_mov_b32 s9, 0x3e7ad7f2
	v_add_f64 v[1:2], v[4:5], s[8:9]
	v_div_scale_f64 v[4:5], s[8:9], v[1:2], v[1:2], s[4:5]
	v_div_scale_f64 v[18:19], vcc, s[4:5], v[1:2], s[4:5]
	v_rcp_f64_e32 v[14:15], v[4:5]
	v_fma_f64 v[16:17], -v[4:5], v[14:15], 1.0
	v_fma_f64 v[14:15], v[14:15], v[16:17], v[14:15]
	v_fma_f64 v[16:17], -v[4:5], v[14:15], 1.0
	v_fma_f64 v[14:15], v[14:15], v[16:17], v[14:15]
	v_mul_f64 v[16:17], v[18:19], v[14:15]
	v_fma_f64 v[4:5], -v[4:5], v[16:17], v[18:19]
	v_div_fmas_f64 v[4:5], v[4:5], v[14:15], v[16:17]
	v_div_fixup_f64 v[1:2], v[4:5], v[1:2], s[4:5]
.LBB5_76:
	s_or_b64 exec, exec, s[6:7]
	global_load_dwordx2 v[14:15], v8, s[2:3]
	v_mov_b32_e32 v4, 0
	v_mov_b32_e32 v7, 0
	;; [unrolled: 1-line block ×4, first 2 shown]
	s_waitcnt vmcnt(0)
	v_cmp_lt_f64_e32 vcc, s[4:5], v[14:15]
	s_and_saveexec_b64 s[6:7], vcc
	s_cbranch_execz .LBB5_78
; %bb.77:
	s_mov_b32 s8, 0x9abcaf48
	s_mov_b32 s9, 0x3e7ad7f2
	v_add_f64 v[7:8], v[14:15], s[8:9]
	v_div_scale_f64 v[14:15], s[8:9], v[7:8], v[7:8], s[4:5]
	v_div_scale_f64 v[20:21], vcc, s[4:5], v[7:8], s[4:5]
	v_rcp_f64_e32 v[16:17], v[14:15]
	v_fma_f64 v[18:19], -v[14:15], v[16:17], 1.0
	v_fma_f64 v[16:17], v[16:17], v[18:19], v[16:17]
	v_fma_f64 v[18:19], -v[14:15], v[16:17], 1.0
	v_fma_f64 v[16:17], v[16:17], v[18:19], v[16:17]
	v_mul_f64 v[18:19], v[20:21], v[16:17]
	v_fma_f64 v[14:15], -v[14:15], v[18:19], v[20:21]
	v_div_fmas_f64 v[14:15], v[14:15], v[16:17], v[18:19]
	v_div_fixup_f64 v[7:8], v[14:15], v[7:8], s[4:5]
.LBB5_78:
	s_or_b64 exec, exec, s[6:7]
	global_load_dwordx2 v[10:11], v11, s[2:3]
	s_waitcnt vmcnt(0)
	v_cmp_lt_f64_e32 vcc, s[4:5], v[10:11]
	s_and_saveexec_b64 s[2:3], vcc
	s_cbranch_execz .LBB5_80
; %bb.79:
	s_mov_b32 s6, 0x9abcaf48
	s_mov_b32 s7, 0x3e7ad7f2
	v_add_f64 v[4:5], v[10:11], s[6:7]
	v_div_scale_f64 v[10:11], s[6:7], v[4:5], v[4:5], s[4:5]
	v_div_scale_f64 v[18:19], vcc, s[4:5], v[4:5], s[4:5]
	v_rcp_f64_e32 v[14:15], v[10:11]
	v_fma_f64 v[16:17], -v[10:11], v[14:15], 1.0
	v_fma_f64 v[14:15], v[14:15], v[16:17], v[14:15]
	v_fma_f64 v[16:17], -v[10:11], v[14:15], 1.0
	v_fma_f64 v[14:15], v[14:15], v[16:17], v[14:15]
	v_mul_f64 v[16:17], v[18:19], v[14:15]
	v_fma_f64 v[10:11], -v[10:11], v[16:17], v[18:19]
	v_div_fmas_f64 v[10:11], v[10:11], v[14:15], v[16:17]
	v_div_fixup_f64 v[4:5], v[10:11], v[4:5], s[4:5]
.LBB5_80:
	s_or_b64 exec, exec, s[2:3]
	global_store_dwordx2 v0, v[12:13], s[0:1]
	global_store_dwordx2 v3, v[1:2], s[0:1]
	;; [unrolled: 1-line block ×4, first 2 shown]
	s_endpgm
.LBB5_81:
	v_mov_b32_e32 v0, 0
	v_mov_b32_e32 v2, 0
	s_branch .LBB5_87
.LBB5_82:
	v_mov_b32_e32 v0, 0
	v_mov_b32_e32 v2, 0
	s_branch .LBB5_105
.LBB5_83:
	s_mov_b32 s59, 0
	v_mov_b32_e32 v0, 0
	v_mov_b32_e32 v2, 0
	;; [unrolled: 1-line block ×3, first 2 shown]
.LBB5_84:
	s_and_b32 s4, s60, 3
	s_cmp_eq_u32 s4, 0
	s_cbranch_scc1 .LBB5_87
; %bb.85:
	s_lshl_b32 s0, s59, 3
	s_add_u32 s0, s34, s0
	s_addc_u32 s1, s35, 0
	s_add_u32 s0, s0, 0xc4
	s_addc_u32 s1, s1, 0
	s_mul_i32 s2, s59, 12
	s_add_u32 s2, s34, s2
	s_addc_u32 s3, s35, 0
.LBB5_86:                               ; =>This Inner Loop Header: Depth=1
	s_load_dwordx2 s[6:7], s[2:3], 0x4
	s_load_dword s5, s[2:3], 0xc
	s_load_dwordx2 s[8:9], s[0:1], 0x0
	s_add_u32 s2, s2, 12
	s_addc_u32 s3, s3, 0
	s_waitcnt lgkmcnt(0)
	v_mul_hi_u32 v3, s7, v1
	s_add_u32 s0, s0, 8
	s_addc_u32 s1, s1, 0
	s_add_i32 s4, s4, -1
	v_add_u32_e32 v3, v1, v3
	v_lshrrev_b32_e32 v4, s5, v3
	v_mul_lo_u32 v3, v4, s6
	s_cmp_lg_u32 s4, 0
	v_sub_u32_e32 v3, v1, v3
	v_mad_u64_u32 v[0:1], s[6:7], v3, s8, v[0:1]
	v_mad_u64_u32 v[2:3], s[6:7], v3, s9, v[2:3]
	v_mov_b32_e32 v1, v4
	s_cbranch_scc1 .LBB5_86
.LBB5_87:
	s_cbranch_execnz .LBB5_90
.LBB5_88:
	s_waitcnt lgkmcnt(0)
	v_mul_hi_u32 v0, s21, v7
	s_andn2_b64 vcc, exec, s[44:45]
	v_add_u32_e32 v0, v7, v0
	v_lshrrev_b32_e32 v1, s22, v0
	v_mul_lo_u32 v0, v1, s20
	v_sub_u32_e32 v2, v7, v0
	v_mul_lo_u32 v0, v2, s24
	v_mul_lo_u32 v2, v2, s25
	s_cbranch_vccnz .LBB5_90
; %bb.89:
	v_mul_hi_u32 v3, s42, v1
	v_add_u32_e32 v3, v1, v3
	v_lshrrev_b32_e32 v3, s43, v3
	v_mul_lo_u32 v3, v3, s23
	v_sub_u32_e32 v3, v1, v3
	v_mad_u64_u32 v[0:1], s[0:1], v3, s26, v[0:1]
	v_mad_u64_u32 v[2:3], s[0:1], v3, s27, v[2:3]
.LBB5_90:
	s_waitcnt lgkmcnt(0)
	global_load_dwordx2 v[1:2], v2, s[18:19]
	v_mov_b32_e32 v3, 0
	v_mov_b32_e32 v4, 0x3ff00000
	s_waitcnt vmcnt(0)
	v_cmp_lt_f64_e32 vcc, s[40:41], v[1:2]
	s_and_saveexec_b64 s[0:1], vcc
	s_cbranch_execz .LBB5_92
; %bb.91:
	s_mov_b32 s2, 0x9abcaf48
	s_mov_b32 s3, 0x3e7ad7f2
	v_add_f64 v[1:2], v[1:2], s[2:3]
	v_div_scale_f64 v[3:4], s[2:3], v[1:2], v[1:2], s[40:41]
	v_div_scale_f64 v[10:11], vcc, s[40:41], v[1:2], s[40:41]
	v_rcp_f64_e32 v[5:6], v[3:4]
	v_fma_f64 v[8:9], -v[3:4], v[5:6], 1.0
	v_fma_f64 v[5:6], v[5:6], v[8:9], v[5:6]
	v_fma_f64 v[8:9], -v[3:4], v[5:6], 1.0
	v_fma_f64 v[5:6], v[5:6], v[8:9], v[5:6]
	v_mul_f64 v[8:9], v[10:11], v[5:6]
	v_fma_f64 v[3:4], -v[3:4], v[8:9], v[10:11]
	v_div_fmas_f64 v[3:4], v[3:4], v[5:6], v[8:9]
	v_div_fixup_f64 v[3:4], v[3:4], v[1:2], s[40:41]
.LBB5_92:
	s_or_b64 exec, exec, s[0:1]
	v_add_u32_e32 v7, 0x80, v7
	global_store_dwordx2 v0, v[3:4], s[16:17]
	s_or_b64 exec, exec, s[50:51]
	v_cmp_gt_i32_e32 vcc, s57, v7
	s_and_saveexec_b64 s[50:51], vcc
	s_cbranch_execnz .LBB5_15
.LBB5_93:
	s_or_b64 exec, exec, s[50:51]
	v_cmp_gt_i32_e32 vcc, s57, v7
	s_and_saveexec_b64 s[50:51], vcc
	s_cbranch_execz .LBB5_111
.LBB5_94:
	s_andn2_b64 vcc, exec, s[36:37]
	s_cbranch_vccnz .LBB5_99
; %bb.95:
	s_andn2_b64 vcc, exec, s[48:49]
	s_cbranch_vccnz .LBB5_100
; %bb.96:
	s_add_i32 s60, s58, 1
	s_cmp_eq_u32 s56, 2
	s_cbranch_scc1 .LBB5_114
; %bb.97:
	s_and_b32 s59, s60, 28
	v_mov_b32_e32 v2, 0
	s_mov_b32 s61, 0
	s_mov_b64 s[52:53], s[34:35]
	s_mov_b64 s[54:55], s[46:47]
	v_mov_b32_e32 v0, 0
	v_mov_b32_e32 v1, v7
.LBB5_98:                               ; =>This Inner Loop Header: Depth=1
	s_load_dwordx8 s[8:15], s[52:53], 0x4
	s_load_dwordx4 s[28:31], s[52:53], 0x24
	s_load_dwordx8 s[0:7], s[54:55], 0x0
	s_add_u32 s52, s52, 48
	s_addc_u32 s53, s53, 0
	s_waitcnt lgkmcnt(0)
	v_mul_hi_u32 v3, s9, v1
	s_add_i32 s61, s61, 4
	s_add_u32 s54, s54, 32
	s_addc_u32 s55, s55, 0
	v_add_u32_e32 v3, v1, v3
	v_lshrrev_b32_e32 v3, s10, v3
	v_mul_lo_u32 v4, v3, s8
	v_mul_hi_u32 v5, s12, v3
	s_cmp_eq_u32 s59, s61
	v_sub_u32_e32 v1, v1, v4
	v_add_u32_e32 v4, v3, v5
	v_mul_lo_u32 v5, v1, s0
	v_mul_lo_u32 v6, v1, s1
	v_lshrrev_b32_e32 v1, s13, v4
	v_mul_lo_u32 v4, v1, s11
	v_mul_hi_u32 v8, s15, v1
	v_sub_u32_e32 v3, v3, v4
	v_add_u32_e32 v4, v1, v8
	v_lshrrev_b32_e32 v4, s28, v4
	v_mul_hi_u32 v9, s30, v4
	v_mul_lo_u32 v10, v4, s14
	v_mul_lo_u32 v8, v3, s2
	;; [unrolled: 1-line block ×3, first 2 shown]
	v_sub_u32_e32 v10, v1, v10
	v_add_u32_e32 v1, v4, v9
	v_lshrrev_b32_e32 v1, s31, v1
	v_mul_lo_u32 v9, v1, s29
	v_mul_lo_u32 v11, v10, s4
	;; [unrolled: 1-line block ×3, first 2 shown]
	v_add3_u32 v0, v5, v0, v8
	v_sub_u32_e32 v4, v4, v9
	v_mul_lo_u32 v9, v4, s6
	v_mul_lo_u32 v4, v4, s7
	v_add3_u32 v2, v6, v2, v3
	v_add3_u32 v0, v11, v0, v9
	;; [unrolled: 1-line block ×3, first 2 shown]
	s_cbranch_scc0 .LBB5_98
	s_branch .LBB5_115
.LBB5_99:
                                        ; implicit-def: $vgpr0
                                        ; implicit-def: $vgpr2
	s_branch .LBB5_119
.LBB5_100:
	v_mov_b32_e32 v0, 0
	v_mov_b32_e32 v2, 0
	s_branch .LBB5_118
.LBB5_101:
	s_mov_b32 s59, 0
	v_mov_b32_e32 v0, 0
	v_mov_b32_e32 v2, 0
	;; [unrolled: 1-line block ×3, first 2 shown]
.LBB5_102:
	s_and_b32 s4, s60, 3
	s_cmp_eq_u32 s4, 0
	s_cbranch_scc1 .LBB5_105
; %bb.103:
	s_lshl_b32 s0, s59, 3
	s_add_u32 s0, s34, s0
	s_addc_u32 s1, s35, 0
	s_add_u32 s0, s0, 0xc4
	s_addc_u32 s1, s1, 0
	s_mul_i32 s2, s59, 12
	s_add_u32 s2, s34, s2
	s_addc_u32 s3, s35, 0
.LBB5_104:                              ; =>This Inner Loop Header: Depth=1
	s_load_dwordx2 s[6:7], s[2:3], 0x4
	s_load_dword s5, s[2:3], 0xc
	s_load_dwordx2 s[8:9], s[0:1], 0x0
	s_add_u32 s2, s2, 12
	s_addc_u32 s3, s3, 0
	s_waitcnt lgkmcnt(0)
	v_mul_hi_u32 v3, s7, v1
	s_add_u32 s0, s0, 8
	s_addc_u32 s1, s1, 0
	s_add_i32 s4, s4, -1
	v_add_u32_e32 v3, v1, v3
	v_lshrrev_b32_e32 v4, s5, v3
	v_mul_lo_u32 v3, v4, s6
	s_cmp_lg_u32 s4, 0
	v_sub_u32_e32 v3, v1, v3
	v_mad_u64_u32 v[0:1], s[6:7], v3, s8, v[0:1]
	v_mad_u64_u32 v[2:3], s[6:7], v3, s9, v[2:3]
	v_mov_b32_e32 v1, v4
	s_cbranch_scc1 .LBB5_104
.LBB5_105:
	s_cbranch_execnz .LBB5_108
.LBB5_106:
	s_waitcnt lgkmcnt(0)
	v_mul_hi_u32 v0, s21, v7
	s_andn2_b64 vcc, exec, s[44:45]
	v_add_u32_e32 v0, v7, v0
	v_lshrrev_b32_e32 v1, s22, v0
	v_mul_lo_u32 v0, v1, s20
	v_sub_u32_e32 v2, v7, v0
	v_mul_lo_u32 v0, v2, s24
	v_mul_lo_u32 v2, v2, s25
	s_cbranch_vccnz .LBB5_108
; %bb.107:
	v_mul_hi_u32 v3, s42, v1
	v_add_u32_e32 v3, v1, v3
	v_lshrrev_b32_e32 v3, s43, v3
	v_mul_lo_u32 v3, v3, s23
	v_sub_u32_e32 v3, v1, v3
	v_mad_u64_u32 v[0:1], s[0:1], v3, s26, v[0:1]
	v_mad_u64_u32 v[2:3], s[0:1], v3, s27, v[2:3]
.LBB5_108:
	s_waitcnt lgkmcnt(0)
	global_load_dwordx2 v[1:2], v2, s[18:19]
	v_mov_b32_e32 v3, 0
	v_mov_b32_e32 v4, 0x3ff00000
	s_waitcnt vmcnt(0)
	v_cmp_lt_f64_e32 vcc, s[40:41], v[1:2]
	s_and_saveexec_b64 s[0:1], vcc
	s_cbranch_execz .LBB5_110
; %bb.109:
	s_mov_b32 s2, 0x9abcaf48
	s_mov_b32 s3, 0x3e7ad7f2
	v_add_f64 v[1:2], v[1:2], s[2:3]
	v_div_scale_f64 v[3:4], s[2:3], v[1:2], v[1:2], s[40:41]
	v_div_scale_f64 v[10:11], vcc, s[40:41], v[1:2], s[40:41]
	v_rcp_f64_e32 v[5:6], v[3:4]
	v_fma_f64 v[8:9], -v[3:4], v[5:6], 1.0
	v_fma_f64 v[5:6], v[5:6], v[8:9], v[5:6]
	v_fma_f64 v[8:9], -v[3:4], v[5:6], 1.0
	v_fma_f64 v[5:6], v[5:6], v[8:9], v[5:6]
	v_mul_f64 v[8:9], v[10:11], v[5:6]
	v_fma_f64 v[3:4], -v[3:4], v[8:9], v[10:11]
	v_div_fmas_f64 v[3:4], v[3:4], v[5:6], v[8:9]
	v_div_fixup_f64 v[3:4], v[3:4], v[1:2], s[40:41]
.LBB5_110:
	s_or_b64 exec, exec, s[0:1]
	v_add_u32_e32 v7, 0x80, v7
	global_store_dwordx2 v0, v[3:4], s[16:17]
	s_or_b64 exec, exec, s[50:51]
	v_cmp_gt_i32_e32 vcc, s57, v7
	s_and_saveexec_b64 s[50:51], vcc
	s_cbranch_execnz .LBB5_94
.LBB5_111:
	s_or_b64 exec, exec, s[50:51]
	v_cmp_gt_i32_e32 vcc, s57, v7
	s_and_saveexec_b64 s[50:51], vcc
	s_cbranch_execnz .LBB5_124
.LBB5_112:
	s_or_b64 exec, exec, s[50:51]
                                        ; implicit-def: $vgpr13
                                        ; implicit-def: $vgpr7
	s_andn2_saveexec_b64 s[0:1], s[38:39]
	s_cbranch_execnz .LBB5_8
.LBB5_113:
	s_endpgm
.LBB5_114:
	s_mov_b32 s59, 0
	v_mov_b32_e32 v0, 0
	v_mov_b32_e32 v2, 0
	;; [unrolled: 1-line block ×3, first 2 shown]
.LBB5_115:
	s_and_b32 s4, s60, 3
	s_cmp_eq_u32 s4, 0
	s_cbranch_scc1 .LBB5_118
; %bb.116:
	s_lshl_b32 s0, s59, 3
	s_add_u32 s0, s34, s0
	s_addc_u32 s1, s35, 0
	s_add_u32 s0, s0, 0xc4
	s_addc_u32 s1, s1, 0
	s_mul_i32 s2, s59, 12
	s_add_u32 s2, s34, s2
	s_addc_u32 s3, s35, 0
.LBB5_117:                              ; =>This Inner Loop Header: Depth=1
	s_load_dwordx2 s[6:7], s[2:3], 0x4
	s_load_dword s5, s[2:3], 0xc
	s_load_dwordx2 s[8:9], s[0:1], 0x0
	s_add_u32 s2, s2, 12
	s_addc_u32 s3, s3, 0
	s_waitcnt lgkmcnt(0)
	v_mul_hi_u32 v3, s7, v1
	s_add_u32 s0, s0, 8
	s_addc_u32 s1, s1, 0
	s_add_i32 s4, s4, -1
	v_add_u32_e32 v3, v1, v3
	v_lshrrev_b32_e32 v4, s5, v3
	v_mul_lo_u32 v3, v4, s6
	s_cmp_lg_u32 s4, 0
	v_sub_u32_e32 v3, v1, v3
	v_mad_u64_u32 v[0:1], s[6:7], v3, s8, v[0:1]
	v_mad_u64_u32 v[2:3], s[6:7], v3, s9, v[2:3]
	v_mov_b32_e32 v1, v4
	s_cbranch_scc1 .LBB5_117
.LBB5_118:
	s_cbranch_execnz .LBB5_121
.LBB5_119:
	s_waitcnt lgkmcnt(0)
	v_mul_hi_u32 v0, s21, v7
	s_andn2_b64 vcc, exec, s[44:45]
	v_add_u32_e32 v0, v7, v0
	v_lshrrev_b32_e32 v1, s22, v0
	v_mul_lo_u32 v0, v1, s20
	v_sub_u32_e32 v2, v7, v0
	v_mul_lo_u32 v0, v2, s24
	v_mul_lo_u32 v2, v2, s25
	s_cbranch_vccnz .LBB5_121
; %bb.120:
	v_mul_hi_u32 v3, s42, v1
	v_add_u32_e32 v3, v1, v3
	v_lshrrev_b32_e32 v3, s43, v3
	v_mul_lo_u32 v3, v3, s23
	v_sub_u32_e32 v3, v1, v3
	v_mad_u64_u32 v[0:1], s[0:1], v3, s26, v[0:1]
	v_mad_u64_u32 v[2:3], s[0:1], v3, s27, v[2:3]
.LBB5_121:
	s_waitcnt lgkmcnt(0)
	global_load_dwordx2 v[1:2], v2, s[18:19]
	v_mov_b32_e32 v3, 0
	v_mov_b32_e32 v4, 0x3ff00000
	s_waitcnt vmcnt(0)
	v_cmp_lt_f64_e32 vcc, s[40:41], v[1:2]
	s_and_saveexec_b64 s[0:1], vcc
	s_cbranch_execz .LBB5_123
; %bb.122:
	s_mov_b32 s2, 0x9abcaf48
	s_mov_b32 s3, 0x3e7ad7f2
	v_add_f64 v[1:2], v[1:2], s[2:3]
	v_div_scale_f64 v[3:4], s[2:3], v[1:2], v[1:2], s[40:41]
	v_div_scale_f64 v[10:11], vcc, s[40:41], v[1:2], s[40:41]
	v_rcp_f64_e32 v[5:6], v[3:4]
	v_fma_f64 v[8:9], -v[3:4], v[5:6], 1.0
	v_fma_f64 v[5:6], v[5:6], v[8:9], v[5:6]
	v_fma_f64 v[8:9], -v[3:4], v[5:6], 1.0
	v_fma_f64 v[5:6], v[5:6], v[8:9], v[5:6]
	v_mul_f64 v[8:9], v[10:11], v[5:6]
	v_fma_f64 v[3:4], -v[3:4], v[8:9], v[10:11]
	v_div_fmas_f64 v[3:4], v[3:4], v[5:6], v[8:9]
	v_div_fixup_f64 v[3:4], v[3:4], v[1:2], s[40:41]
.LBB5_123:
	s_or_b64 exec, exec, s[0:1]
	v_add_u32_e32 v7, 0x80, v7
	global_store_dwordx2 v0, v[3:4], s[16:17]
	s_or_b64 exec, exec, s[50:51]
	v_cmp_gt_i32_e32 vcc, s57, v7
	s_and_saveexec_b64 s[50:51], vcc
	s_cbranch_execz .LBB5_112
.LBB5_124:
	s_andn2_b64 vcc, exec, s[36:37]
	s_cbranch_vccnz .LBB5_129
; %bb.125:
	s_andn2_b64 vcc, exec, s[48:49]
	s_cbranch_vccnz .LBB5_130
; %bb.126:
	s_add_i32 s58, s58, 1
	s_cmp_eq_u32 s56, 2
	s_cbranch_scc1 .LBB5_131
; %bb.127:
	s_and_b32 s52, s58, 28
	v_mov_b32_e32 v2, 0
	s_mov_b32 s53, 0
	s_mov_b64 s[48:49], s[34:35]
	v_mov_b32_e32 v0, 0
	v_mov_b32_e32 v1, v7
.LBB5_128:                              ; =>This Inner Loop Header: Depth=1
	s_load_dwordx8 s[8:15], s[48:49], 0x4
	s_load_dwordx4 s[28:31], s[48:49], 0x24
	s_load_dwordx8 s[0:7], s[46:47], 0x0
	s_add_u32 s48, s48, 48
	s_addc_u32 s49, s49, 0
	s_waitcnt lgkmcnt(0)
	v_mul_hi_u32 v3, s9, v1
	s_add_i32 s53, s53, 4
	s_add_u32 s46, s46, 32
	s_addc_u32 s47, s47, 0
	v_add_u32_e32 v3, v1, v3
	v_lshrrev_b32_e32 v3, s10, v3
	v_mul_lo_u32 v4, v3, s8
	v_mul_hi_u32 v5, s12, v3
	s_cmp_eq_u32 s52, s53
	v_sub_u32_e32 v1, v1, v4
	v_add_u32_e32 v4, v3, v5
	v_mul_lo_u32 v5, v1, s0
	v_mul_lo_u32 v6, v1, s1
	v_lshrrev_b32_e32 v1, s13, v4
	v_mul_lo_u32 v4, v1, s11
	v_mul_hi_u32 v8, s15, v1
	v_sub_u32_e32 v3, v3, v4
	v_add_u32_e32 v4, v1, v8
	v_lshrrev_b32_e32 v4, s28, v4
	v_mul_hi_u32 v9, s30, v4
	v_mul_lo_u32 v10, v4, s14
	v_mul_lo_u32 v8, v3, s2
	;; [unrolled: 1-line block ×3, first 2 shown]
	v_sub_u32_e32 v10, v1, v10
	v_add_u32_e32 v1, v4, v9
	v_lshrrev_b32_e32 v1, s31, v1
	v_mul_lo_u32 v9, v1, s29
	v_mul_lo_u32 v11, v10, s4
	;; [unrolled: 1-line block ×3, first 2 shown]
	v_add3_u32 v0, v5, v0, v8
	v_sub_u32_e32 v4, v4, v9
	v_mul_lo_u32 v9, v4, s6
	v_mul_lo_u32 v4, v4, s7
	v_add3_u32 v2, v6, v2, v3
	v_add3_u32 v0, v11, v0, v9
	;; [unrolled: 1-line block ×3, first 2 shown]
	s_cbranch_scc0 .LBB5_128
	s_branch .LBB5_132
.LBB5_129:
                                        ; implicit-def: $vgpr0
                                        ; implicit-def: $vgpr2
	s_branch .LBB5_136
.LBB5_130:
	v_mov_b32_e32 v0, 0
	v_mov_b32_e32 v2, 0
	s_branch .LBB5_135
.LBB5_131:
	s_mov_b32 s52, 0
	v_mov_b32_e32 v0, 0
	v_mov_b32_e32 v2, 0
	;; [unrolled: 1-line block ×3, first 2 shown]
.LBB5_132:
	s_and_b32 s4, s58, 3
	s_cmp_eq_u32 s4, 0
	s_cbranch_scc1 .LBB5_135
; %bb.133:
	s_lshl_b32 s0, s52, 3
	s_add_u32 s0, s34, s0
	s_addc_u32 s1, s35, 0
	s_add_u32 s0, s0, 0xc4
	s_addc_u32 s1, s1, 0
	s_mul_i32 s2, s52, 12
	s_add_u32 s2, s34, s2
	s_addc_u32 s3, s35, 0
.LBB5_134:                              ; =>This Inner Loop Header: Depth=1
	s_load_dwordx2 s[6:7], s[2:3], 0x4
	s_load_dword s5, s[2:3], 0xc
	s_load_dwordx2 s[8:9], s[0:1], 0x0
	s_add_u32 s2, s2, 12
	s_addc_u32 s3, s3, 0
	s_waitcnt lgkmcnt(0)
	v_mul_hi_u32 v3, s7, v1
	s_add_u32 s0, s0, 8
	s_addc_u32 s1, s1, 0
	s_add_i32 s4, s4, -1
	v_add_u32_e32 v3, v1, v3
	v_lshrrev_b32_e32 v4, s5, v3
	v_mul_lo_u32 v3, v4, s6
	s_cmp_lg_u32 s4, 0
	v_sub_u32_e32 v3, v1, v3
	v_mad_u64_u32 v[0:1], s[6:7], v3, s8, v[0:1]
	v_mad_u64_u32 v[2:3], s[6:7], v3, s9, v[2:3]
	v_mov_b32_e32 v1, v4
	s_cbranch_scc1 .LBB5_134
.LBB5_135:
	s_cbranch_execnz .LBB5_138
.LBB5_136:
	s_waitcnt lgkmcnt(0)
	v_mul_hi_u32 v0, s21, v7
	s_andn2_b64 vcc, exec, s[44:45]
	v_add_u32_e32 v0, v7, v0
	v_lshrrev_b32_e32 v1, s22, v0
	v_mul_lo_u32 v0, v1, s20
	v_sub_u32_e32 v2, v7, v0
	v_mul_lo_u32 v0, v2, s24
	v_mul_lo_u32 v2, v2, s25
	s_cbranch_vccnz .LBB5_138
; %bb.137:
	v_mul_hi_u32 v3, s42, v1
	v_add_u32_e32 v3, v1, v3
	v_lshrrev_b32_e32 v3, s43, v3
	v_mul_lo_u32 v3, v3, s23
	v_sub_u32_e32 v3, v1, v3
	v_mad_u64_u32 v[0:1], s[0:1], v3, s26, v[0:1]
	v_mad_u64_u32 v[2:3], s[0:1], v3, s27, v[2:3]
.LBB5_138:
	s_waitcnt lgkmcnt(0)
	global_load_dwordx2 v[1:2], v2, s[18:19]
	v_mov_b32_e32 v3, 0
	v_mov_b32_e32 v4, 0x3ff00000
	s_waitcnt vmcnt(0)
	v_cmp_lt_f64_e32 vcc, s[40:41], v[1:2]
	s_and_saveexec_b64 s[0:1], vcc
	s_cbranch_execz .LBB5_140
; %bb.139:
	s_mov_b32 s2, 0x9abcaf48
	s_mov_b32 s3, 0x3e7ad7f2
	v_add_f64 v[1:2], v[1:2], s[2:3]
	v_div_scale_f64 v[3:4], s[2:3], v[1:2], v[1:2], s[40:41]
	v_div_scale_f64 v[9:10], vcc, s[40:41], v[1:2], s[40:41]
	v_rcp_f64_e32 v[5:6], v[3:4]
	v_fma_f64 v[7:8], -v[3:4], v[5:6], 1.0
	v_fma_f64 v[5:6], v[5:6], v[7:8], v[5:6]
	v_fma_f64 v[7:8], -v[3:4], v[5:6], 1.0
	v_fma_f64 v[5:6], v[5:6], v[7:8], v[5:6]
	v_mul_f64 v[7:8], v[9:10], v[5:6]
	v_fma_f64 v[3:4], -v[3:4], v[7:8], v[9:10]
	v_div_fmas_f64 v[3:4], v[3:4], v[5:6], v[7:8]
	v_div_fixup_f64 v[3:4], v[3:4], v[1:2], s[40:41]
.LBB5_140:
	s_or_b64 exec, exec, s[0:1]
	global_store_dwordx2 v0, v[3:4], s[16:17]
	s_or_b64 exec, exec, s[50:51]
                                        ; implicit-def: $vgpr13
                                        ; implicit-def: $vgpr7
	s_andn2_saveexec_b64 s[0:1], s[38:39]
	s_cbranch_execz .LBB5_113
	s_branch .LBB5_8
	.section	.rodata,"a",@progbits
	.p2align	6, 0x0
	.amdhsa_kernel _ZN2at6native32elementwise_kernel_manual_unrollILi128ELi4EZNS0_22gpu_kernel_impl_nocastIZZZNS0_12_GLOBAL__N_124renorm_scale_factor_implERNS_18TensorIteratorBaseEdENKUlvE_clEvENKUlvE_clEvEUldE_EEvS5_RKT_EUlibE_EEviT1_
		.amdhsa_group_segment_fixed_size 0
		.amdhsa_private_segment_fixed_size 0
		.amdhsa_kernarg_size 360
		.amdhsa_user_sgpr_count 6
		.amdhsa_user_sgpr_private_segment_buffer 1
		.amdhsa_user_sgpr_dispatch_ptr 0
		.amdhsa_user_sgpr_queue_ptr 0
		.amdhsa_user_sgpr_kernarg_segment_ptr 1
		.amdhsa_user_sgpr_dispatch_id 0
		.amdhsa_user_sgpr_flat_scratch_init 0
		.amdhsa_user_sgpr_private_segment_size 0
		.amdhsa_uses_dynamic_stack 0
		.amdhsa_system_sgpr_private_segment_wavefront_offset 0
		.amdhsa_system_sgpr_workgroup_id_x 1
		.amdhsa_system_sgpr_workgroup_id_y 0
		.amdhsa_system_sgpr_workgroup_id_z 0
		.amdhsa_system_sgpr_workgroup_info 0
		.amdhsa_system_vgpr_workitem_id 0
		.amdhsa_next_free_vgpr 22
		.amdhsa_next_free_sgpr 62
		.amdhsa_reserve_vcc 1
		.amdhsa_reserve_flat_scratch 0
		.amdhsa_float_round_mode_32 0
		.amdhsa_float_round_mode_16_64 0
		.amdhsa_float_denorm_mode_32 3
		.amdhsa_float_denorm_mode_16_64 3
		.amdhsa_dx10_clamp 1
		.amdhsa_ieee_mode 1
		.amdhsa_fp16_overflow 0
		.amdhsa_exception_fp_ieee_invalid_op 0
		.amdhsa_exception_fp_denorm_src 0
		.amdhsa_exception_fp_ieee_div_zero 0
		.amdhsa_exception_fp_ieee_overflow 0
		.amdhsa_exception_fp_ieee_underflow 0
		.amdhsa_exception_fp_ieee_inexact 0
		.amdhsa_exception_int_div_zero 0
	.end_amdhsa_kernel
	.section	.text._ZN2at6native32elementwise_kernel_manual_unrollILi128ELi4EZNS0_22gpu_kernel_impl_nocastIZZZNS0_12_GLOBAL__N_124renorm_scale_factor_implERNS_18TensorIteratorBaseEdENKUlvE_clEvENKUlvE_clEvEUldE_EEvS5_RKT_EUlibE_EEviT1_,"axG",@progbits,_ZN2at6native32elementwise_kernel_manual_unrollILi128ELi4EZNS0_22gpu_kernel_impl_nocastIZZZNS0_12_GLOBAL__N_124renorm_scale_factor_implERNS_18TensorIteratorBaseEdENKUlvE_clEvENKUlvE_clEvEUldE_EEvS5_RKT_EUlibE_EEviT1_,comdat
.Lfunc_end5:
	.size	_ZN2at6native32elementwise_kernel_manual_unrollILi128ELi4EZNS0_22gpu_kernel_impl_nocastIZZZNS0_12_GLOBAL__N_124renorm_scale_factor_implERNS_18TensorIteratorBaseEdENKUlvE_clEvENKUlvE_clEvEUldE_EEvS5_RKT_EUlibE_EEviT1_, .Lfunc_end5-_ZN2at6native32elementwise_kernel_manual_unrollILi128ELi4EZNS0_22gpu_kernel_impl_nocastIZZZNS0_12_GLOBAL__N_124renorm_scale_factor_implERNS_18TensorIteratorBaseEdENKUlvE_clEvENKUlvE_clEvEUldE_EEvS5_RKT_EUlibE_EEviT1_
                                        ; -- End function
	.set _ZN2at6native32elementwise_kernel_manual_unrollILi128ELi4EZNS0_22gpu_kernel_impl_nocastIZZZNS0_12_GLOBAL__N_124renorm_scale_factor_implERNS_18TensorIteratorBaseEdENKUlvE_clEvENKUlvE_clEvEUldE_EEvS5_RKT_EUlibE_EEviT1_.num_vgpr, 22
	.set _ZN2at6native32elementwise_kernel_manual_unrollILi128ELi4EZNS0_22gpu_kernel_impl_nocastIZZZNS0_12_GLOBAL__N_124renorm_scale_factor_implERNS_18TensorIteratorBaseEdENKUlvE_clEvENKUlvE_clEvEUldE_EEvS5_RKT_EUlibE_EEviT1_.num_agpr, 0
	.set _ZN2at6native32elementwise_kernel_manual_unrollILi128ELi4EZNS0_22gpu_kernel_impl_nocastIZZZNS0_12_GLOBAL__N_124renorm_scale_factor_implERNS_18TensorIteratorBaseEdENKUlvE_clEvENKUlvE_clEvEUldE_EEvS5_RKT_EUlibE_EEviT1_.numbered_sgpr, 62
	.set _ZN2at6native32elementwise_kernel_manual_unrollILi128ELi4EZNS0_22gpu_kernel_impl_nocastIZZZNS0_12_GLOBAL__N_124renorm_scale_factor_implERNS_18TensorIteratorBaseEdENKUlvE_clEvENKUlvE_clEvEUldE_EEvS5_RKT_EUlibE_EEviT1_.num_named_barrier, 0
	.set _ZN2at6native32elementwise_kernel_manual_unrollILi128ELi4EZNS0_22gpu_kernel_impl_nocastIZZZNS0_12_GLOBAL__N_124renorm_scale_factor_implERNS_18TensorIteratorBaseEdENKUlvE_clEvENKUlvE_clEvEUldE_EEvS5_RKT_EUlibE_EEviT1_.private_seg_size, 0
	.set _ZN2at6native32elementwise_kernel_manual_unrollILi128ELi4EZNS0_22gpu_kernel_impl_nocastIZZZNS0_12_GLOBAL__N_124renorm_scale_factor_implERNS_18TensorIteratorBaseEdENKUlvE_clEvENKUlvE_clEvEUldE_EEvS5_RKT_EUlibE_EEviT1_.uses_vcc, 1
	.set _ZN2at6native32elementwise_kernel_manual_unrollILi128ELi4EZNS0_22gpu_kernel_impl_nocastIZZZNS0_12_GLOBAL__N_124renorm_scale_factor_implERNS_18TensorIteratorBaseEdENKUlvE_clEvENKUlvE_clEvEUldE_EEvS5_RKT_EUlibE_EEviT1_.uses_flat_scratch, 0
	.set _ZN2at6native32elementwise_kernel_manual_unrollILi128ELi4EZNS0_22gpu_kernel_impl_nocastIZZZNS0_12_GLOBAL__N_124renorm_scale_factor_implERNS_18TensorIteratorBaseEdENKUlvE_clEvENKUlvE_clEvEUldE_EEvS5_RKT_EUlibE_EEviT1_.has_dyn_sized_stack, 0
	.set _ZN2at6native32elementwise_kernel_manual_unrollILi128ELi4EZNS0_22gpu_kernel_impl_nocastIZZZNS0_12_GLOBAL__N_124renorm_scale_factor_implERNS_18TensorIteratorBaseEdENKUlvE_clEvENKUlvE_clEvEUldE_EEvS5_RKT_EUlibE_EEviT1_.has_recursion, 0
	.set _ZN2at6native32elementwise_kernel_manual_unrollILi128ELi4EZNS0_22gpu_kernel_impl_nocastIZZZNS0_12_GLOBAL__N_124renorm_scale_factor_implERNS_18TensorIteratorBaseEdENKUlvE_clEvENKUlvE_clEvEUldE_EEvS5_RKT_EUlibE_EEviT1_.has_indirect_call, 0
	.section	.AMDGPU.csdata,"",@progbits
; Kernel info:
; codeLenInByte = 6784
; TotalNumSgprs: 66
; NumVgprs: 22
; ScratchSize: 0
; MemoryBound: 0
; FloatMode: 240
; IeeeMode: 1
; LDSByteSize: 0 bytes/workgroup (compile time only)
; SGPRBlocks: 8
; VGPRBlocks: 5
; NumSGPRsForWavesPerEU: 66
; NumVGPRsForWavesPerEU: 22
; Occupancy: 10
; WaveLimiterHint : 1
; COMPUTE_PGM_RSRC2:SCRATCH_EN: 0
; COMPUTE_PGM_RSRC2:USER_SGPR: 6
; COMPUTE_PGM_RSRC2:TRAP_HANDLER: 0
; COMPUTE_PGM_RSRC2:TGID_X_EN: 1
; COMPUTE_PGM_RSRC2:TGID_Y_EN: 0
; COMPUTE_PGM_RSRC2:TGID_Z_EN: 0
; COMPUTE_PGM_RSRC2:TIDIG_COMP_CNT: 0
	.section	.text._ZN2at6native32elementwise_kernel_manual_unrollILi128ELi4EZNS0_15gpu_kernel_implIZZZNS0_12_GLOBAL__N_124renorm_scale_factor_implERNS_18TensorIteratorBaseEdENKUlvE_clEvENKUlvE_clEvEUldE_EEvS5_RKT_EUlibE_EEviT1_,"axG",@progbits,_ZN2at6native32elementwise_kernel_manual_unrollILi128ELi4EZNS0_15gpu_kernel_implIZZZNS0_12_GLOBAL__N_124renorm_scale_factor_implERNS_18TensorIteratorBaseEdENKUlvE_clEvENKUlvE_clEvEUldE_EEvS5_RKT_EUlibE_EEviT1_,comdat
	.globl	_ZN2at6native32elementwise_kernel_manual_unrollILi128ELi4EZNS0_15gpu_kernel_implIZZZNS0_12_GLOBAL__N_124renorm_scale_factor_implERNS_18TensorIteratorBaseEdENKUlvE_clEvENKUlvE_clEvEUldE_EEvS5_RKT_EUlibE_EEviT1_ ; -- Begin function _ZN2at6native32elementwise_kernel_manual_unrollILi128ELi4EZNS0_15gpu_kernel_implIZZZNS0_12_GLOBAL__N_124renorm_scale_factor_implERNS_18TensorIteratorBaseEdENKUlvE_clEvENKUlvE_clEvEUldE_EEvS5_RKT_EUlibE_EEviT1_
	.p2align	8
	.type	_ZN2at6native32elementwise_kernel_manual_unrollILi128ELi4EZNS0_15gpu_kernel_implIZZZNS0_12_GLOBAL__N_124renorm_scale_factor_implERNS_18TensorIteratorBaseEdENKUlvE_clEvENKUlvE_clEvEUldE_EEvS5_RKT_EUlibE_EEviT1_,@function
_ZN2at6native32elementwise_kernel_manual_unrollILi128ELi4EZNS0_15gpu_kernel_implIZZZNS0_12_GLOBAL__N_124renorm_scale_factor_implERNS_18TensorIteratorBaseEdENKUlvE_clEvENKUlvE_clEvEUldE_EEvS5_RKT_EUlibE_EEviT1_: ; @_ZN2at6native32elementwise_kernel_manual_unrollILi128ELi4EZNS0_15gpu_kernel_implIZZZNS0_12_GLOBAL__N_124renorm_scale_factor_implERNS_18TensorIteratorBaseEdENKUlvE_clEvENKUlvE_clEvEUldE_EEvS5_RKT_EUlibE_EEviT1_
; %bb.0:
	s_load_dword s33, s[4:5], 0x28
	s_load_dword s40, s[4:5], 0x0
	s_load_dwordx8 s[8:15], s[4:5], 0x8
	v_lshl_or_b32 v10, s6, 9, v0
	v_or_b32_e32 v0, 0x180, v10
	s_waitcnt lgkmcnt(0)
	s_bfe_u32 s44, s33, 0x80008
	v_cmp_le_i32_e32 vcc, s40, v0
	s_mov_b64 s[2:3], 0
	s_mov_b64 s[6:7], 0
	s_and_saveexec_b64 s[0:1], vcc
	s_xor_b64 s[4:5], exec, s[0:1]
	s_cbranch_execz .LBB6_1035
; %bb.1:
	v_cmp_gt_i32_e32 vcc, s40, v10
	s_mov_b64 s[20:21], -1
	s_mov_b64 s[22:23], 0
	s_mov_b64 s[16:17], 0
	s_and_saveexec_b64 s[18:19], vcc
	s_cbranch_execz .LBB6_254
; %bb.2:
	v_mul_lo_u32 v0, v10, s13
	v_mov_b32_e32 v1, s11
	s_and_b32 s24, 0xffff, s44
	s_cmp_lt_i32 s24, 11
	v_ashrrev_i32_e32 v2, 31, v0
	v_add_co_u32_e32 v0, vcc, s10, v0
	v_addc_co_u32_e32 v1, vcc, v1, v2, vcc
	s_cbranch_scc1 .LBB6_9
; %bb.3:
	s_cmp_gt_i32 s24, 25
	s_cbranch_scc0 .LBB6_20
; %bb.4:
	s_cmp_gt_i32 s24, 28
	s_cbranch_scc0 .LBB6_24
	;; [unrolled: 3-line block ×4, first 2 shown]
; %bb.7:
	s_cmp_eq_u32 s24, 46
	s_cbranch_scc0 .LBB6_30
; %bb.8:
	global_load_dword v2, v[0:1], off
	s_mov_b64 s[0:1], -1
	s_waitcnt vmcnt(0)
	v_lshlrev_b32_e32 v2, 16, v2
	v_cvt_f64_f32_e32 v[2:3], v2
	s_branch .LBB6_32
.LBB6_9:
                                        ; implicit-def: $vgpr2_vgpr3
	s_mov_b64 s[0:1], 0
	s_cbranch_execnz .LBB6_205
.LBB6_10:
	s_andn2_b64 vcc, exec, s[0:1]
	s_cbranch_vccnz .LBB6_252
.LBB6_11:
	s_waitcnt vmcnt(0)
	v_cmp_lt_f64_e32 vcc, s[14:15], v[2:3]
	v_mov_b32_e32 v0, 0
	v_mov_b32_e32 v1, 0x3ff00000
	s_and_saveexec_b64 s[0:1], vcc
	s_cbranch_execz .LBB6_13
; %bb.12:
	s_mov_b32 s6, 0x9abcaf48
	s_mov_b32 s7, 0x3e7ad7f2
	v_add_f64 v[0:1], v[2:3], s[6:7]
	v_div_scale_f64 v[2:3], s[6:7], v[0:1], v[0:1], s[14:15]
	v_div_scale_f64 v[8:9], vcc, s[14:15], v[0:1], s[14:15]
	v_rcp_f64_e32 v[4:5], v[2:3]
	v_fma_f64 v[6:7], -v[2:3], v[4:5], 1.0
	v_fma_f64 v[4:5], v[4:5], v[6:7], v[4:5]
	v_fma_f64 v[6:7], -v[2:3], v[4:5], 1.0
	v_fma_f64 v[4:5], v[4:5], v[6:7], v[4:5]
	v_mul_f64 v[6:7], v[8:9], v[4:5]
	v_fma_f64 v[2:3], -v[2:3], v[6:7], v[8:9]
	v_div_fmas_f64 v[2:3], v[2:3], v[4:5], v[6:7]
	v_div_fixup_f64 v[0:1], v[2:3], v[0:1], s[14:15]
.LBB6_13:
	s_or_b64 exec, exec, s[0:1]
	v_mul_lo_u32 v2, v10, s12
	v_mov_b32_e32 v3, s9
	s_and_b32 s26, s33, 0xff
	s_cmp_lt_i32 s26, 11
	v_ashrrev_i32_e32 v5, 31, v2
	v_add_co_u32_e32 v4, vcc, s8, v2
	v_addc_co_u32_e32 v5, vcc, v3, v5, vcc
	s_cbranch_scc1 .LBB6_21
; %bb.14:
	s_and_b32 s27, 0xffff, s26
	s_cmp_gt_i32 s27, 25
	s_cbranch_scc0 .LBB6_25
; %bb.15:
	s_cmp_gt_i32 s27, 28
	s_cbranch_scc0 .LBB6_27
; %bb.16:
	;; [unrolled: 3-line block ×4, first 2 shown]
	s_mov_b64 s[20:21], 0
	s_mov_b64 s[0:1], -1
	s_cmp_eq_u32 s27, 46
	s_mov_b64 s[6:7], 0
	s_cbranch_scc0 .LBB6_36
; %bb.19:
	v_cvt_f32_f64_e32 v2, v[0:1]
	s_movk_i32 s0, 0x7fff
	v_mov_b32_e32 v3, 0x7fc0
	s_mov_b64 s[6:7], -1
	v_bfe_u32 v6, v2, 16, 1
	v_cmp_o_f32_e32 vcc, v2, v2
	v_add3_u32 v2, v2, v6, s0
	v_cndmask_b32_sdwa v2, v3, v2, vcc dst_sel:DWORD dst_unused:UNUSED_PAD src0_sel:DWORD src1_sel:WORD_1
	global_store_dword v[4:5], v2, off
	s_mov_b64 s[0:1], 0
	s_branch .LBB6_36
.LBB6_20:
	s_mov_b64 s[0:1], 0
                                        ; implicit-def: $vgpr2_vgpr3
	s_cbranch_execnz .LBB6_172
	s_branch .LBB6_204
.LBB6_21:
	s_mov_b64 s[0:1], 0
	s_mov_b64 s[6:7], 0
	s_cbranch_execnz .LBB6_105
.LBB6_22:
	s_andn2_b64 vcc, exec, s[6:7]
	s_cbranch_vccnz .LBB6_143
.LBB6_23:
	v_add_u32_e32 v10, 0x80, v10
	s_mov_b64 s[20:21], -1
	s_branch .LBB6_253
.LBB6_24:
	s_mov_b64 s[6:7], -1
	s_mov_b64 s[0:1], 0
                                        ; implicit-def: $vgpr2_vgpr3
	s_branch .LBB6_151
.LBB6_25:
	s_mov_b64 s[20:21], -1
	s_mov_b64 s[0:1], 0
	s_mov_b64 s[6:7], 0
	s_branch .LBB6_63
.LBB6_26:
	s_mov_b64 s[6:7], -1
	s_mov_b64 s[0:1], 0
                                        ; implicit-def: $vgpr2_vgpr3
	s_branch .LBB6_146
.LBB6_27:
	s_mov_b64 s[20:21], -1
	s_mov_b64 s[0:1], 0
	s_mov_b64 s[6:7], 0
	s_branch .LBB6_46
.LBB6_28:
	s_mov_b64 s[6:7], -1
	s_branch .LBB6_31
.LBB6_29:
	s_mov_b64 s[20:21], -1
	s_mov_b64 s[0:1], 0
	s_mov_b64 s[6:7], 0
	s_branch .LBB6_42
.LBB6_30:
	s_mov_b64 s[16:17], -1
.LBB6_31:
	s_mov_b64 s[0:1], 0
                                        ; implicit-def: $vgpr2_vgpr3
.LBB6_32:
	s_and_b64 vcc, exec, s[6:7]
	s_cbranch_vccz .LBB6_145
; %bb.33:
	s_cmp_eq_u32 s24, 44
	s_cbranch_scc0 .LBB6_144
; %bb.34:
	global_load_ubyte v4, v[0:1], off
	s_movk_i32 s6, 0xff
	v_bfrev_b32_e32 v5, 4
	v_mov_b32_e32 v6, 0x7ff80000
	v_bfrev_b32_e32 v7, 28
	s_mov_b64 s[0:1], -1
	s_mov_b64 s[16:17], 0
	s_waitcnt vmcnt(0)
	v_lshlrev_b32_e32 v2, 23, v4
	v_cvt_f64_f32_e32 v[2:3], v2
	v_cmp_ne_u32_e32 vcc, s6, v4
	v_cndmask_b32_e32 v2, v5, v2, vcc
	v_cndmask_b32_e32 v3, v6, v3, vcc
	v_cmp_ne_u32_e32 vcc, 0, v4
	v_cndmask_b32_e32 v3, v7, v3, vcc
	v_cndmask_b32_e32 v2, 0, v2, vcc
	s_branch .LBB6_145
.LBB6_35:
	s_mov_b64 s[20:21], -1
	s_mov_b64 s[0:1], 0
	s_mov_b64 s[6:7], 0
.LBB6_36:
	s_and_b64 vcc, exec, s[20:21]
	s_cbranch_vccz .LBB6_41
; %bb.37:
	s_cmp_eq_u32 s27, 44
	s_mov_b64 s[0:1], -1
	s_cbranch_scc0 .LBB6_41
; %bb.38:
	v_cvt_f32_f64_e32 v2, v[0:1]
	s_movk_i32 s0, 0xff
	v_mov_b32_e32 v6, 0xff
	v_bfe_u32 v3, v2, 23, 8
	v_cmp_ne_u32_e32 vcc, s0, v3
	s_and_saveexec_b64 s[6:7], vcc
; %bb.39:
	s_mov_b32 s0, 0x3fffff
	v_lshrrev_b32_e32 v6, 23, v2
	v_and_b32_e32 v7, 0x400000, v2
	v_and_or_b32 v2, v2, s0, v3
	v_cmp_ne_u32_e32 vcc, 0, v7
	v_cmp_ne_u32_e64 s[0:1], 0, v2
	s_and_b64 s[0:1], vcc, s[0:1]
	v_cndmask_b32_e64 v2, 0, 1, s[0:1]
	v_add_u32_e32 v6, v6, v2
; %bb.40:
	s_or_b64 exec, exec, s[6:7]
	s_mov_b64 s[6:7], -1
	s_mov_b64 s[0:1], 0
	global_store_byte v[4:5], v6, off
.LBB6_41:
	s_mov_b64 s[20:21], 0
.LBB6_42:
	s_and_b64 vcc, exec, s[20:21]
	s_cbranch_vccz .LBB6_45
; %bb.43:
	s_cmp_eq_u32 s27, 29
	s_mov_b64 s[0:1], -1
	s_cbranch_scc0 .LBB6_45
; %bb.44:
	v_trunc_f64_e32 v[2:3], v[0:1]
	s_movk_i32 s0, 0xffe0
	s_mov_b64 s[6:7], -1
	s_mov_b64 s[20:21], 0
	v_ldexp_f64 v[6:7], v[2:3], s0
	s_mov_b32 s0, 0
	s_mov_b32 s1, 0xc1f00000
	v_floor_f64_e32 v[6:7], v[6:7]
	v_fma_f64 v[2:3], v[6:7], s[0:1], v[2:3]
	v_cvt_u32_f64_e32 v7, v[6:7]
	s_mov_b64 s[0:1], 0
	v_cvt_u32_f64_e32 v6, v[2:3]
	global_store_dwordx2 v[4:5], v[6:7], off
	s_branch .LBB6_46
.LBB6_45:
	s_mov_b64 s[20:21], 0
.LBB6_46:
	s_and_b64 vcc, exec, s[20:21]
	s_cbranch_vccz .LBB6_62
; %bb.47:
	s_cmp_lt_i32 s27, 27
	s_mov_b64 s[6:7], -1
	s_cbranch_scc1 .LBB6_53
; %bb.48:
	v_cvt_u32_f64_e32 v2, v[0:1]
	s_cmp_gt_i32 s27, 27
	s_cbranch_scc0 .LBB6_50
; %bb.49:
	s_mov_b64 s[6:7], 0
	global_store_dword v[4:5], v2, off
.LBB6_50:
	s_andn2_b64 vcc, exec, s[6:7]
	s_cbranch_vccnz .LBB6_52
; %bb.51:
	global_store_short v[4:5], v2, off
.LBB6_52:
	s_mov_b64 s[6:7], 0
.LBB6_53:
	s_andn2_b64 vcc, exec, s[6:7]
	s_cbranch_vccnz .LBB6_61
; %bb.54:
	v_cvt_f32_f64_e32 v2, v[0:1]
	s_mov_b32 s6, 0x43800000
	v_mov_b32_e32 v6, 0x80
	v_and_b32_e32 v3, 0x7fffffff, v2
	v_cmp_gt_u32_e32 vcc, s6, v3
	s_and_saveexec_b64 s[6:7], vcc
	s_cbranch_execz .LBB6_60
; %bb.55:
	s_mov_b32 s20, 0x3bffffff
	v_cmp_lt_u32_e32 vcc, s20, v3
	s_mov_b64 s[20:21], 0
                                        ; implicit-def: $vgpr3
	s_and_saveexec_b64 s[24:25], vcc
	s_xor_b64 s[24:25], exec, s[24:25]
	s_cbranch_execz .LBB6_283
; %bb.56:
	v_bfe_u32 v3, v2, 20, 1
	s_mov_b32 s28, 0x487ffff
	v_add3_u32 v3, v2, v3, s28
	s_mov_b64 s[20:21], exec
	v_lshrrev_b32_e32 v3, 20, v3
	s_andn2_saveexec_b64 s[24:25], s[24:25]
	s_cbranch_execnz .LBB6_284
.LBB6_57:
	s_or_b64 exec, exec, s[24:25]
	v_mov_b32_e32 v6, 0
	s_and_saveexec_b64 s[24:25], s[20:21]
.LBB6_58:
	v_lshrrev_b32_e32 v2, 24, v2
	s_movk_i32 s20, 0x80
	v_and_or_b32 v6, v2, s20, v3
.LBB6_59:
	s_or_b64 exec, exec, s[24:25]
.LBB6_60:
	s_or_b64 exec, exec, s[6:7]
	global_store_byte v[4:5], v6, off
.LBB6_61:
	s_mov_b64 s[6:7], -1
.LBB6_62:
	s_mov_b64 s[20:21], 0
.LBB6_63:
	s_and_b64 vcc, exec, s[20:21]
	s_cbranch_vccz .LBB6_104
; %bb.64:
	s_cmp_gt_i32 s27, 22
	s_mov_b64 s[20:21], -1
	s_cbranch_scc0 .LBB6_96
; %bb.65:
	s_cmp_lt_i32 s27, 24
	s_mov_b64 s[6:7], -1
	s_cbranch_scc1 .LBB6_85
; %bb.66:
	s_cmp_gt_i32 s27, 24
	s_cbranch_scc0 .LBB6_74
; %bb.67:
	v_cvt_f32_f64_e32 v2, v[0:1]
	s_mov_b32 s6, 0x47800000
	v_mov_b32_e32 v6, 0x80
	v_and_b32_e32 v3, 0x7fffffff, v2
	v_cmp_gt_u32_e32 vcc, s6, v3
	s_and_saveexec_b64 s[6:7], vcc
	s_cbranch_execz .LBB6_73
; %bb.68:
	s_mov_b32 s20, 0x37ffffff
	v_cmp_lt_u32_e32 vcc, s20, v3
	s_mov_b64 s[20:21], 0
                                        ; implicit-def: $vgpr3
	s_and_saveexec_b64 s[24:25], vcc
	s_xor_b64 s[24:25], exec, s[24:25]
	s_cbranch_execz .LBB6_287
; %bb.69:
	v_bfe_u32 v3, v2, 21, 1
	s_mov_b32 s28, 0x88fffff
	v_add3_u32 v3, v2, v3, s28
	s_mov_b64 s[20:21], exec
	v_lshrrev_b32_e32 v3, 21, v3
	s_andn2_saveexec_b64 s[24:25], s[24:25]
	s_cbranch_execnz .LBB6_288
.LBB6_70:
	s_or_b64 exec, exec, s[24:25]
	v_mov_b32_e32 v6, 0
	s_and_saveexec_b64 s[24:25], s[20:21]
.LBB6_71:
	v_lshrrev_b32_e32 v2, 24, v2
	s_movk_i32 s20, 0x80
	v_and_or_b32 v6, v2, s20, v3
.LBB6_72:
	s_or_b64 exec, exec, s[24:25]
.LBB6_73:
	s_or_b64 exec, exec, s[6:7]
	s_mov_b64 s[6:7], 0
	global_store_byte v[4:5], v6, off
.LBB6_74:
	s_and_b64 vcc, exec, s[6:7]
	s_cbranch_vccz .LBB6_84
; %bb.75:
	v_cvt_f32_f64_e32 v2, v[0:1]
	s_mov_b32 s6, 0x43f00000
                                        ; implicit-def: $vgpr3
	v_and_b32_e32 v6, 0x7fffffff, v2
	v_cmp_gt_u32_e32 vcc, s6, v6
	s_and_saveexec_b64 s[6:7], vcc
	s_xor_b64 s[6:7], exec, s[6:7]
	s_cbranch_execz .LBB6_81
; %bb.76:
	s_mov_b32 s20, 0x3c7fffff
	v_cmp_lt_u32_e32 vcc, s20, v6
                                        ; implicit-def: $vgpr3
	s_and_saveexec_b64 s[20:21], vcc
	s_xor_b64 s[20:21], exec, s[20:21]
; %bb.77:
	v_bfe_u32 v3, v2, 20, 1
	s_mov_b32 s24, 0x407ffff
	v_add3_u32 v3, v2, v3, s24
	v_lshrrev_b32_e32 v6, 20, v3
	v_and_b32_e32 v3, 0xff00000, v3
	s_mov_b32 s24, 0x7f00000
	v_mov_b32_e32 v7, 0x7e
	v_cmp_ne_u32_e32 vcc, s24, v3
	v_cndmask_b32_e32 v3, v7, v6, vcc
; %bb.78:
	s_andn2_saveexec_b64 s[20:21], s[20:21]
; %bb.79:
	s_mov_b32 s24, 0x46800000
	v_add_f32_e64 v3, |v2|, s24
; %bb.80:
	s_or_b64 exec, exec, s[20:21]
                                        ; implicit-def: $vgpr6
.LBB6_81:
	s_andn2_saveexec_b64 s[6:7], s[6:7]
; %bb.82:
	s_mov_b32 s20, 0x7f800000
	v_mov_b32_e32 v3, 0x7e
	v_mov_b32_e32 v7, 0x7f
	v_cmp_lt_u32_e32 vcc, s20, v6
	v_cndmask_b32_e32 v3, v3, v7, vcc
; %bb.83:
	s_or_b64 exec, exec, s[6:7]
	v_lshrrev_b32_e32 v2, 24, v2
	s_movk_i32 s6, 0x80
	v_and_or_b32 v2, v2, s6, v3
	global_store_byte v[4:5], v2, off
.LBB6_84:
	s_mov_b64 s[6:7], 0
.LBB6_85:
	s_andn2_b64 vcc, exec, s[6:7]
	s_cbranch_vccnz .LBB6_95
; %bb.86:
	v_cvt_f32_f64_e32 v2, v[0:1]
	s_mov_b32 s6, 0x47800000
                                        ; implicit-def: $vgpr3
	v_and_b32_e32 v6, 0x7fffffff, v2
	v_cmp_gt_u32_e32 vcc, s6, v6
	s_and_saveexec_b64 s[6:7], vcc
	s_xor_b64 s[6:7], exec, s[6:7]
	s_cbranch_execz .LBB6_92
; %bb.87:
	s_mov_b32 s20, 0x387fffff
	v_cmp_lt_u32_e32 vcc, s20, v6
                                        ; implicit-def: $vgpr3
	s_and_saveexec_b64 s[20:21], vcc
	s_xor_b64 s[20:21], exec, s[20:21]
; %bb.88:
	v_bfe_u32 v3, v2, 21, 1
	s_mov_b32 s24, 0x80fffff
	v_add3_u32 v3, v2, v3, s24
	v_lshrrev_b32_e32 v3, 21, v3
; %bb.89:
	s_andn2_saveexec_b64 s[20:21], s[20:21]
; %bb.90:
	s_mov_b32 s24, 0x43000000
	v_add_f32_e64 v3, |v2|, s24
; %bb.91:
	s_or_b64 exec, exec, s[20:21]
                                        ; implicit-def: $vgpr6
.LBB6_92:
	s_andn2_saveexec_b64 s[6:7], s[6:7]
; %bb.93:
	s_mov_b32 s20, 0x7f800000
	v_mov_b32_e32 v3, 0x7c
	v_mov_b32_e32 v7, 0x7f
	v_cmp_lt_u32_e32 vcc, s20, v6
	v_cndmask_b32_e32 v3, v3, v7, vcc
; %bb.94:
	s_or_b64 exec, exec, s[6:7]
	v_lshrrev_b32_e32 v2, 24, v2
	s_movk_i32 s6, 0x80
	v_and_or_b32 v2, v2, s6, v3
	global_store_byte v[4:5], v2, off
.LBB6_95:
	s_mov_b64 s[20:21], 0
	s_mov_b64 s[6:7], -1
.LBB6_96:
	s_andn2_b64 vcc, exec, s[20:21]
	s_cbranch_vccnz .LBB6_104
; %bb.97:
	s_cmp_gt_i32 s27, 14
	s_mov_b64 s[20:21], -1
	s_cbranch_scc0 .LBB6_101
; %bb.98:
	s_cmp_eq_u32 s27, 15
	s_mov_b64 s[0:1], -1
	s_cbranch_scc0 .LBB6_100
; %bb.99:
	v_cvt_f32_f64_e32 v2, v[0:1]
	s_movk_i32 s0, 0x7fff
	v_mov_b32_e32 v3, 0x7fc0
	s_mov_b64 s[6:7], -1
	v_bfe_u32 v6, v2, 16, 1
	v_cmp_o_f32_e32 vcc, v2, v2
	v_add3_u32 v2, v2, v6, s0
	v_cndmask_b32_sdwa v2, v3, v2, vcc dst_sel:DWORD dst_unused:UNUSED_PAD src0_sel:DWORD src1_sel:WORD_1
	global_store_short v[4:5], v2, off
	s_mov_b64 s[0:1], 0
.LBB6_100:
	s_mov_b64 s[20:21], 0
.LBB6_101:
	s_and_b64 vcc, exec, s[20:21]
	s_cbranch_vccz .LBB6_104
; %bb.102:
	s_cmp_eq_u32 s27, 11
	s_mov_b64 s[0:1], -1
	s_cbranch_scc0 .LBB6_104
; %bb.103:
	v_cmp_neq_f64_e32 vcc, 0, v[0:1]
	s_mov_b64 s[0:1], 0
	s_mov_b64 s[6:7], -1
	v_cndmask_b32_e64 v2, 0, 1, vcc
	global_store_byte v[4:5], v2, off
.LBB6_104:
	s_branch .LBB6_22
.LBB6_105:
	s_and_b32 s20, 0xffff, s26
	s_cmp_lt_i32 s20, 5
	s_mov_b64 s[6:7], -1
	s_cbranch_scc1 .LBB6_126
; %bb.106:
	s_cmp_lt_i32 s20, 8
	s_cbranch_scc1 .LBB6_116
; %bb.107:
	s_cmp_lt_i32 s20, 9
	s_cbranch_scc1 .LBB6_113
; %bb.108:
	s_cmp_gt_i32 s20, 9
	s_cbranch_scc0 .LBB6_110
; %bb.109:
	v_mov_b32_e32 v2, 0
	v_mov_b32_e32 v3, v2
	global_store_dwordx4 v[4:5], v[0:3], off
	s_mov_b64 s[6:7], 0
.LBB6_110:
	s_andn2_b64 vcc, exec, s[6:7]
	s_cbranch_vccnz .LBB6_112
; %bb.111:
	v_cvt_f32_f64_e32 v2, v[0:1]
	v_mov_b32_e32 v3, 0
	global_store_dwordx2 v[4:5], v[2:3], off
.LBB6_112:
	s_mov_b64 s[6:7], 0
.LBB6_113:
	s_andn2_b64 vcc, exec, s[6:7]
	s_cbranch_vccnz .LBB6_115
; %bb.114:
	s_movk_i32 s6, 0x1ff
	v_and_or_b32 v2, v1, s6, v0
	v_cmp_ne_u32_e32 vcc, 0, v2
	v_cndmask_b32_e64 v2, 0, 1, vcc
	v_lshrrev_b32_e32 v3, 8, v1
	s_movk_i32 s6, 0xffe
	v_bfe_u32 v6, v1, 20, 11
	v_and_or_b32 v2, v3, s6, v2
	v_sub_u32_e32 v7, 0x3f1, v6
	v_or_b32_e32 v3, 0x1000, v2
	v_med3_i32 v7, v7, 0, 13
	v_lshrrev_b32_e32 v8, v7, v3
	v_lshlrev_b32_e32 v7, v7, v8
	v_cmp_ne_u32_e32 vcc, v7, v3
	v_cndmask_b32_e64 v3, 0, 1, vcc
	v_add_u32_e32 v6, 0xfffffc10, v6
	v_or_b32_e32 v3, v8, v3
	v_lshl_or_b32 v7, v6, 12, v2
	v_cmp_gt_i32_e32 vcc, 1, v6
	v_cndmask_b32_e32 v3, v7, v3, vcc
	v_and_b32_e32 v7, 7, v3
	v_cmp_lt_i32_e32 vcc, 5, v7
	v_cndmask_b32_e64 v8, 0, 1, vcc
	v_cmp_eq_u32_e32 vcc, 3, v7
	v_cndmask_b32_e64 v7, 0, 1, vcc
	v_or_b32_e32 v7, v7, v8
	v_lshrrev_b32_e32 v3, 2, v3
	v_add_u32_e32 v3, v3, v7
	v_mov_b32_e32 v7, 0x7c00
	v_cmp_gt_i32_e32 vcc, 31, v6
	v_cndmask_b32_e32 v3, v7, v3, vcc
	v_mov_b32_e32 v8, 0x7e00
	v_cmp_ne_u32_e32 vcc, 0, v2
	s_movk_i32 s6, 0x40f
	v_cndmask_b32_e32 v2, v7, v8, vcc
	v_cmp_eq_u32_e32 vcc, s6, v6
	v_cndmask_b32_e32 v2, v3, v2, vcc
	v_lshrrev_b32_e32 v3, 16, v1
	s_mov_b32 s6, 0x8000
	v_and_or_b32 v2, v3, s6, v2
	v_and_b32_e32 v2, 0xffff, v2
	global_store_dword v[4:5], v2, off
.LBB6_115:
	s_mov_b64 s[6:7], 0
.LBB6_116:
	s_andn2_b64 vcc, exec, s[6:7]
	s_cbranch_vccnz .LBB6_125
; %bb.117:
	s_cmp_lt_i32 s20, 6
	s_mov_b64 s[6:7], -1
	s_cbranch_scc1 .LBB6_123
; %bb.118:
	s_cmp_gt_i32 s20, 6
	s_cbranch_scc0 .LBB6_120
; %bb.119:
	global_store_dwordx2 v[4:5], v[0:1], off
	s_mov_b64 s[6:7], 0
.LBB6_120:
	s_andn2_b64 vcc, exec, s[6:7]
	s_cbranch_vccnz .LBB6_122
; %bb.121:
	v_cvt_f32_f64_e32 v2, v[0:1]
	global_store_dword v[4:5], v2, off
.LBB6_122:
	s_mov_b64 s[6:7], 0
.LBB6_123:
	s_andn2_b64 vcc, exec, s[6:7]
	s_cbranch_vccnz .LBB6_125
; %bb.124:
	s_movk_i32 s6, 0x1ff
	v_and_or_b32 v2, v1, s6, v0
	v_cmp_ne_u32_e32 vcc, 0, v2
	v_cndmask_b32_e64 v2, 0, 1, vcc
	v_lshrrev_b32_e32 v3, 8, v1
	s_movk_i32 s6, 0xffe
	v_bfe_u32 v6, v1, 20, 11
	v_and_or_b32 v2, v3, s6, v2
	v_sub_u32_e32 v7, 0x3f1, v6
	v_or_b32_e32 v3, 0x1000, v2
	v_med3_i32 v7, v7, 0, 13
	v_lshrrev_b32_e32 v8, v7, v3
	v_lshlrev_b32_e32 v7, v7, v8
	v_cmp_ne_u32_e32 vcc, v7, v3
	v_cndmask_b32_e64 v3, 0, 1, vcc
	v_add_u32_e32 v6, 0xfffffc10, v6
	v_or_b32_e32 v3, v8, v3
	v_lshl_or_b32 v7, v6, 12, v2
	v_cmp_gt_i32_e32 vcc, 1, v6
	v_cndmask_b32_e32 v3, v7, v3, vcc
	v_and_b32_e32 v7, 7, v3
	v_cmp_lt_i32_e32 vcc, 5, v7
	v_cndmask_b32_e64 v8, 0, 1, vcc
	v_cmp_eq_u32_e32 vcc, 3, v7
	v_cndmask_b32_e64 v7, 0, 1, vcc
	v_or_b32_e32 v7, v7, v8
	v_lshrrev_b32_e32 v3, 2, v3
	v_add_u32_e32 v3, v3, v7
	v_mov_b32_e32 v7, 0x7c00
	v_cmp_gt_i32_e32 vcc, 31, v6
	v_cndmask_b32_e32 v3, v7, v3, vcc
	v_mov_b32_e32 v8, 0x7e00
	v_cmp_ne_u32_e32 vcc, 0, v2
	s_movk_i32 s6, 0x40f
	v_cndmask_b32_e32 v2, v7, v8, vcc
	v_cmp_eq_u32_e32 vcc, s6, v6
	v_cndmask_b32_e32 v2, v3, v2, vcc
	v_lshrrev_b32_e32 v3, 16, v1
	s_mov_b32 s6, 0x8000
	v_and_or_b32 v2, v3, s6, v2
	global_store_short v[4:5], v2, off
.LBB6_125:
	s_mov_b64 s[6:7], 0
.LBB6_126:
	s_andn2_b64 vcc, exec, s[6:7]
	s_cbranch_vccnz .LBB6_142
; %bb.127:
	s_cmp_lt_i32 s20, 2
	s_mov_b64 s[6:7], -1
	s_cbranch_scc1 .LBB6_137
; %bb.128:
	s_cmp_lt_i32 s20, 3
	s_cbranch_scc1 .LBB6_134
; %bb.129:
	s_cmp_gt_i32 s20, 3
	s_cbranch_scc0 .LBB6_131
; %bb.130:
	v_trunc_f64_e32 v[2:3], v[0:1]
	s_movk_i32 s6, 0xffe0
	v_ldexp_f64 v[6:7], v[2:3], s6
	s_mov_b32 s6, 0
	s_mov_b32 s7, 0xc1f00000
	v_floor_f64_e32 v[6:7], v[6:7]
	v_fma_f64 v[2:3], v[6:7], s[6:7], v[2:3]
	v_cvt_i32_f64_e32 v7, v[6:7]
	s_mov_b64 s[6:7], 0
	v_cvt_u32_f64_e32 v6, v[2:3]
	global_store_dwordx2 v[4:5], v[6:7], off
.LBB6_131:
	s_andn2_b64 vcc, exec, s[6:7]
	s_cbranch_vccnz .LBB6_133
; %bb.132:
	v_cvt_i32_f64_e32 v2, v[0:1]
	global_store_dword v[4:5], v2, off
.LBB6_133:
	s_mov_b64 s[6:7], 0
.LBB6_134:
	s_andn2_b64 vcc, exec, s[6:7]
	s_cbranch_vccnz .LBB6_136
; %bb.135:
	v_cvt_i32_f64_e32 v2, v[0:1]
	global_store_short v[4:5], v2, off
.LBB6_136:
	s_mov_b64 s[6:7], 0
.LBB6_137:
	s_andn2_b64 vcc, exec, s[6:7]
	s_cbranch_vccnz .LBB6_142
; %bb.138:
	s_cmp_gt_i32 s20, 0
	s_mov_b64 s[6:7], -1
	s_cbranch_scc0 .LBB6_140
; %bb.139:
	v_cvt_i32_f64_e32 v2, v[0:1]
	s_mov_b64 s[6:7], 0
	global_store_byte v[4:5], v2, off
.LBB6_140:
	s_andn2_b64 vcc, exec, s[6:7]
	s_cbranch_vccnz .LBB6_142
; %bb.141:
	v_trunc_f64_e32 v[0:1], v[0:1]
	s_movk_i32 s6, 0xffe0
	v_ldexp_f64 v[2:3], v[0:1], s6
	s_mov_b32 s6, 0
	s_mov_b32 s7, 0xc1f00000
	v_floor_f64_e32 v[2:3], v[2:3]
	v_fma_f64 v[0:1], v[2:3], s[6:7], v[0:1]
	v_cvt_u32_f64_e32 v0, v[0:1]
	global_store_byte v[4:5], v0, off
.LBB6_142:
	s_branch .LBB6_23
.LBB6_143:
	s_mov_b64 s[20:21], 0
                                        ; implicit-def: $vgpr10
	s_branch .LBB6_253
.LBB6_144:
	s_mov_b64 s[16:17], -1
                                        ; implicit-def: $vgpr2_vgpr3
.LBB6_145:
	s_mov_b64 s[6:7], 0
.LBB6_146:
	s_and_b64 vcc, exec, s[6:7]
	s_cbranch_vccz .LBB6_150
; %bb.147:
	s_cmp_eq_u32 s24, 29
	s_cbranch_scc0 .LBB6_149
; %bb.148:
	global_load_dwordx2 v[2:3], v[0:1], off
	s_mov_b64 s[0:1], -1
	s_mov_b64 s[16:17], 0
	s_mov_b64 s[6:7], 0
	s_waitcnt vmcnt(0)
	v_cvt_f64_u32_e32 v[3:4], v3
	v_cvt_f64_u32_e32 v[5:6], v2
	v_ldexp_f64 v[3:4], v[3:4], 32
	v_add_f64 v[2:3], v[3:4], v[5:6]
	s_branch .LBB6_151
.LBB6_149:
	s_mov_b64 s[16:17], -1
                                        ; implicit-def: $vgpr2_vgpr3
.LBB6_150:
	s_mov_b64 s[6:7], 0
.LBB6_151:
	s_and_b64 vcc, exec, s[6:7]
	s_cbranch_vccz .LBB6_171
; %bb.152:
	s_cmp_lt_i32 s24, 27
	s_cbranch_scc1 .LBB6_155
; %bb.153:
	s_cmp_gt_i32 s24, 27
	s_cbranch_scc0 .LBB6_156
; %bb.154:
	global_load_dword v2, v[0:1], off
	s_mov_b64 s[0:1], 0
	s_waitcnt vmcnt(0)
	v_cvt_f64_u32_e32 v[2:3], v2
	s_branch .LBB6_157
.LBB6_155:
	s_mov_b64 s[0:1], -1
                                        ; implicit-def: $vgpr2_vgpr3
	s_branch .LBB6_160
.LBB6_156:
	s_mov_b64 s[0:1], -1
                                        ; implicit-def: $vgpr2_vgpr3
.LBB6_157:
	s_andn2_b64 vcc, exec, s[0:1]
	s_cbranch_vccnz .LBB6_159
; %bb.158:
	global_load_ushort v2, v[0:1], off
	s_waitcnt vmcnt(0)
	v_cvt_f64_u32_e32 v[2:3], v2
.LBB6_159:
	s_mov_b64 s[0:1], 0
.LBB6_160:
	s_andn2_b64 vcc, exec, s[0:1]
	s_cbranch_vccnz .LBB6_170
; %bb.161:
	global_load_ubyte v4, v[0:1], off
	s_movk_i32 s0, 0x7f
	s_waitcnt vmcnt(0)
	v_cmp_lt_i16_e32 vcc, s0, v4
	s_mov_b64 s[0:1], 0
	s_and_saveexec_b64 s[6:7], vcc
	s_xor_b64 s[6:7], exec, s[6:7]
	s_cbranch_execz .LBB6_165
; %bb.162:
	s_movk_i32 s0, 0x80
	v_cmp_eq_u16_e32 vcc, s0, v4
	s_mov_b64 s[0:1], -1
	s_and_saveexec_b64 s[20:21], vcc
; %bb.163:
	s_xor_b64 s[0:1], exec, -1
; %bb.164:
	s_or_b64 exec, exec, s[20:21]
	s_and_b64 s[0:1], s[0:1], exec
.LBB6_165:
	s_or_saveexec_b64 s[6:7], s[6:7]
	v_bfrev_b32_e32 v2, 4
	v_mov_b32_e32 v3, 0x7ff80000
	s_xor_b64 exec, exec, s[6:7]
; %bb.166:
	v_cmp_ne_u16_e32 vcc, 0, v4
	v_mov_b32_e32 v2, 0
	s_andn2_b64 s[0:1], s[0:1], exec
	s_and_b64 s[20:21], vcc, exec
	v_mov_b32_e32 v3, 0
	s_or_b64 s[0:1], s[0:1], s[20:21]
; %bb.167:
	s_or_b64 exec, exec, s[6:7]
	s_and_saveexec_b64 s[6:7], s[0:1]
	s_cbranch_execz .LBB6_169
; %bb.168:
	v_and_b32_e32 v3, 0xffff, v4
	v_lshlrev_b32_e32 v2, 24, v4
	v_and_b32_e32 v4, 7, v3
	v_ffbh_u32_e32 v6, v4
	v_min_u32_e32 v6, 32, v6
	v_subrev_u32_e32 v7, 28, v6
	v_bfe_u32 v5, v3, 3, 4
	v_lshlrev_b32_e32 v3, v7, v3
	v_sub_u32_e32 v6, 29, v6
	v_and_b32_e32 v3, 7, v3
	v_cmp_eq_u32_e32 vcc, 0, v5
	v_cndmask_b32_e32 v5, v5, v6, vcc
	v_cndmask_b32_e32 v3, v4, v3, vcc
	v_mov_b32_e32 v4, 0x3b800000
	v_lshlrev_b32_e32 v3, 20, v3
	v_and_b32_e32 v2, 0x80000000, v2
	v_lshl_add_u32 v4, v5, 23, v4
	v_or3_b32 v2, v2, v4, v3
	v_cvt_f64_f32_e32 v[2:3], v2
.LBB6_169:
	s_or_b64 exec, exec, s[6:7]
.LBB6_170:
	s_mov_b64 s[0:1], -1
.LBB6_171:
	s_branch .LBB6_204
.LBB6_172:
	s_cmp_gt_i32 s24, 22
	s_cbranch_scc0 .LBB6_184
; %bb.173:
	s_cmp_lt_i32 s24, 24
	s_cbranch_scc1 .LBB6_185
; %bb.174:
	s_cmp_gt_i32 s24, 24
	s_cbranch_scc0 .LBB6_186
; %bb.175:
	global_load_ubyte v4, v[0:1], off
	s_movk_i32 s0, 0x7f
	s_waitcnt vmcnt(0)
	v_cmp_lt_i16_e32 vcc, s0, v4
	s_mov_b64 s[0:1], 0
	s_and_saveexec_b64 s[6:7], vcc
	s_xor_b64 s[6:7], exec, s[6:7]
	s_cbranch_execz .LBB6_179
; %bb.176:
	s_movk_i32 s0, 0x80
	v_cmp_eq_u16_e32 vcc, s0, v4
	s_mov_b64 s[0:1], -1
	s_and_saveexec_b64 s[20:21], vcc
; %bb.177:
	s_xor_b64 s[0:1], exec, -1
; %bb.178:
	s_or_b64 exec, exec, s[20:21]
	s_and_b64 s[0:1], s[0:1], exec
.LBB6_179:
	s_or_saveexec_b64 s[6:7], s[6:7]
	v_bfrev_b32_e32 v2, 4
	v_mov_b32_e32 v3, 0x7ff80000
	s_xor_b64 exec, exec, s[6:7]
; %bb.180:
	v_cmp_ne_u16_e32 vcc, 0, v4
	v_mov_b32_e32 v2, 0
	s_andn2_b64 s[0:1], s[0:1], exec
	s_and_b64 s[20:21], vcc, exec
	v_mov_b32_e32 v3, 0
	s_or_b64 s[0:1], s[0:1], s[20:21]
; %bb.181:
	s_or_b64 exec, exec, s[6:7]
	s_and_saveexec_b64 s[6:7], s[0:1]
	s_cbranch_execz .LBB6_183
; %bb.182:
	v_and_b32_e32 v3, 0xffff, v4
	v_lshlrev_b32_e32 v2, 24, v4
	v_and_b32_e32 v4, 3, v3
	v_ffbh_u32_e32 v6, v4
	v_min_u32_e32 v6, 32, v6
	v_subrev_u32_e32 v7, 29, v6
	v_bfe_u32 v5, v3, 2, 5
	v_lshlrev_b32_e32 v3, v7, v3
	v_sub_u32_e32 v6, 30, v6
	v_and_b32_e32 v3, 3, v3
	v_cmp_eq_u32_e32 vcc, 0, v5
	v_cndmask_b32_e32 v5, v5, v6, vcc
	v_cndmask_b32_e32 v3, v4, v3, vcc
	v_mov_b32_e32 v4, 0x37800000
	v_lshlrev_b32_e32 v3, 21, v3
	v_and_b32_e32 v2, 0x80000000, v2
	v_lshl_add_u32 v4, v5, 23, v4
	v_or3_b32 v2, v2, v4, v3
	v_cvt_f64_f32_e32 v[2:3], v2
.LBB6_183:
	s_or_b64 exec, exec, s[6:7]
	s_mov_b64 s[0:1], 0
	s_branch .LBB6_187
.LBB6_184:
	s_mov_b64 s[6:7], -1
                                        ; implicit-def: $vgpr2_vgpr3
	s_branch .LBB6_193
.LBB6_185:
	s_mov_b64 s[0:1], -1
                                        ; implicit-def: $vgpr2_vgpr3
	s_branch .LBB6_190
.LBB6_186:
	s_mov_b64 s[0:1], -1
                                        ; implicit-def: $vgpr2_vgpr3
.LBB6_187:
	s_and_b64 vcc, exec, s[0:1]
	s_cbranch_vccz .LBB6_189
; %bb.188:
	global_load_ubyte v2, v[0:1], off
	s_mov_b32 s0, 0x7f800000
	s_waitcnt vmcnt(0)
	v_lshlrev_b32_e32 v2, 24, v2
	v_and_b32_e32 v3, 0x7f000000, v2
	v_ffbh_u32_e32 v4, v3
	v_min_u32_e32 v4, 32, v4
	v_sub_u32_e64 v4, v4, 4 clamp
	v_lshlrev_b32_e32 v6, v4, v3
	v_lshlrev_b32_e32 v4, 23, v4
	v_lshrrev_b32_e32 v6, 4, v6
	v_add_u32_e32 v5, 0x1000000, v3
	v_sub_u32_e32 v4, v6, v4
	v_ashrrev_i32_e32 v5, 8, v5
	v_add_u32_e32 v4, 0x3c000000, v4
	v_and_or_b32 v4, v5, s0, v4
	v_cmp_ne_u32_e32 vcc, 0, v3
	v_cndmask_b32_e32 v3, 0, v4, vcc
	s_brev_b32 s0, 1
	v_and_or_b32 v2, v2, s0, v3
	v_cvt_f64_f32_e32 v[2:3], v2
.LBB6_189:
	s_mov_b64 s[0:1], 0
.LBB6_190:
	s_andn2_b64 vcc, exec, s[0:1]
	s_cbranch_vccnz .LBB6_192
; %bb.191:
	global_load_ubyte v2, v[0:1], off
	s_movk_i32 s0, 0x7f00
	s_brev_b32 s1, 16
	s_waitcnt vmcnt(0)
	v_lshlrev_b16_e32 v3, 8, v2
	v_lshlrev_b32_e32 v2, 25, v2
	v_lshrrev_b32_e32 v4, 4, v2
	v_and_or_b32 v5, v3, s0, 0.5
	v_or_b32_e32 v4, 0x70000000, v4
	v_add_f32_e32 v5, -0.5, v5
	v_mul_f32_e32 v4, 0x7800000, v4
	v_cmp_gt_u32_e32 vcc, s1, v2
	v_bfe_i32 v3, v3, 0, 16
	v_cndmask_b32_e32 v2, v4, v5, vcc
	s_brev_b32 s0, 1
	v_and_or_b32 v2, v3, s0, v2
	v_cvt_f64_f32_e32 v[2:3], v2
.LBB6_192:
	s_mov_b64 s[6:7], 0
	s_mov_b64 s[0:1], -1
.LBB6_193:
	s_andn2_b64 vcc, exec, s[6:7]
	s_cbranch_vccnz .LBB6_204
; %bb.194:
	s_cmp_gt_i32 s24, 14
	s_cbranch_scc0 .LBB6_197
; %bb.195:
	s_cmp_eq_u32 s24, 15
	s_cbranch_scc0 .LBB6_198
; %bb.196:
	global_load_ushort v2, v[0:1], off
	s_mov_b64 s[0:1], -1
	s_mov_b64 s[16:17], 0
	s_waitcnt vmcnt(0)
	v_lshlrev_b32_e32 v2, 16, v2
	v_cvt_f64_f32_e32 v[2:3], v2
	s_branch .LBB6_199
.LBB6_197:
	s_mov_b64 s[6:7], -1
                                        ; implicit-def: $vgpr2_vgpr3
	s_branch .LBB6_200
.LBB6_198:
	s_mov_b64 s[16:17], -1
                                        ; implicit-def: $vgpr2_vgpr3
.LBB6_199:
	s_mov_b64 s[6:7], 0
.LBB6_200:
	s_and_b64 vcc, exec, s[6:7]
	s_cbranch_vccz .LBB6_204
; %bb.201:
	s_cmp_eq_u32 s24, 11
	s_cbranch_scc0 .LBB6_203
; %bb.202:
	global_load_ubyte v3, v[0:1], off
	v_mov_b32_e32 v4, 0x3ff00000
	v_mov_b32_e32 v2, 0
	s_mov_b64 s[0:1], -1
	s_mov_b64 s[16:17], 0
	s_waitcnt vmcnt(0)
	v_cmp_ne_u16_e32 vcc, 0, v3
	v_cndmask_b32_e32 v3, 0, v4, vcc
	s_branch .LBB6_204
.LBB6_203:
	s_mov_b64 s[16:17], -1
                                        ; implicit-def: $vgpr2_vgpr3
.LBB6_204:
	s_branch .LBB6_10
.LBB6_205:
	s_cmp_lt_i32 s24, 5
	s_cbranch_scc1 .LBB6_210
; %bb.206:
	s_cmp_lt_i32 s24, 8
	s_cbranch_scc1 .LBB6_211
; %bb.207:
	;; [unrolled: 3-line block ×3, first 2 shown]
	s_cmp_gt_i32 s24, 9
	s_cbranch_scc0 .LBB6_213
; %bb.209:
	global_load_dwordx2 v[2:3], v[0:1], off
	s_mov_b64 s[0:1], 0
	s_branch .LBB6_214
.LBB6_210:
                                        ; implicit-def: $vgpr2_vgpr3
	s_branch .LBB6_232
.LBB6_211:
	s_mov_b64 s[0:1], -1
                                        ; implicit-def: $vgpr2_vgpr3
	s_branch .LBB6_220
.LBB6_212:
	s_mov_b64 s[0:1], -1
                                        ; implicit-def: $vgpr2_vgpr3
	s_branch .LBB6_217
.LBB6_213:
	s_mov_b64 s[0:1], -1
                                        ; implicit-def: $vgpr2_vgpr3
.LBB6_214:
	s_andn2_b64 vcc, exec, s[0:1]
	s_cbranch_vccnz .LBB6_216
; %bb.215:
	global_load_dword v2, v[0:1], off
	s_waitcnt vmcnt(0)
	v_cvt_f64_f32_e32 v[2:3], v2
.LBB6_216:
	s_mov_b64 s[0:1], 0
.LBB6_217:
	s_andn2_b64 vcc, exec, s[0:1]
	s_cbranch_vccnz .LBB6_219
; %bb.218:
	global_load_dword v2, v[0:1], off
	s_waitcnt vmcnt(0)
	v_cvt_f32_f16_e32 v2, v2
	v_cvt_f64_f32_e32 v[2:3], v2
.LBB6_219:
	s_mov_b64 s[0:1], 0
.LBB6_220:
	s_andn2_b64 vcc, exec, s[0:1]
	s_cbranch_vccnz .LBB6_231
; %bb.221:
	s_cmp_lt_i32 s24, 6
	s_cbranch_scc1 .LBB6_224
; %bb.222:
	s_cmp_gt_i32 s24, 6
	s_cbranch_scc0 .LBB6_225
; %bb.223:
	global_load_dwordx2 v[2:3], v[0:1], off
	s_mov_b64 s[0:1], 0
	s_branch .LBB6_226
.LBB6_224:
	s_mov_b64 s[0:1], -1
                                        ; implicit-def: $vgpr2_vgpr3
	s_branch .LBB6_229
.LBB6_225:
	s_mov_b64 s[0:1], -1
                                        ; implicit-def: $vgpr2_vgpr3
.LBB6_226:
	s_andn2_b64 vcc, exec, s[0:1]
	s_cbranch_vccnz .LBB6_228
; %bb.227:
	global_load_dword v2, v[0:1], off
	s_waitcnt vmcnt(0)
	v_cvt_f64_f32_e32 v[2:3], v2
.LBB6_228:
	s_mov_b64 s[0:1], 0
.LBB6_229:
	s_andn2_b64 vcc, exec, s[0:1]
	s_cbranch_vccnz .LBB6_231
; %bb.230:
	global_load_ushort v2, v[0:1], off
	s_waitcnt vmcnt(0)
	v_cvt_f32_f16_e32 v2, v2
	v_cvt_f64_f32_e32 v[2:3], v2
.LBB6_231:
	s_cbranch_execnz .LBB6_251
.LBB6_232:
	s_cmp_lt_i32 s24, 2
	s_cbranch_scc1 .LBB6_236
; %bb.233:
	s_cmp_lt_i32 s24, 3
	s_cbranch_scc1 .LBB6_237
; %bb.234:
	s_cmp_gt_i32 s24, 3
	s_cbranch_scc0 .LBB6_238
; %bb.235:
	global_load_dwordx2 v[2:3], v[0:1], off
	s_mov_b64 s[0:1], 0
	s_waitcnt vmcnt(0)
	v_cvt_f64_i32_e32 v[3:4], v3
	v_cvt_f64_u32_e32 v[5:6], v2
	v_ldexp_f64 v[3:4], v[3:4], 32
	v_add_f64 v[2:3], v[3:4], v[5:6]
	s_branch .LBB6_239
.LBB6_236:
	s_mov_b64 s[0:1], -1
                                        ; implicit-def: $vgpr2_vgpr3
	s_branch .LBB6_245
.LBB6_237:
	s_mov_b64 s[0:1], -1
                                        ; implicit-def: $vgpr2_vgpr3
	s_branch .LBB6_242
.LBB6_238:
	s_mov_b64 s[0:1], -1
                                        ; implicit-def: $vgpr2_vgpr3
.LBB6_239:
	s_andn2_b64 vcc, exec, s[0:1]
	s_cbranch_vccnz .LBB6_241
; %bb.240:
	global_load_dword v2, v[0:1], off
	s_waitcnt vmcnt(0)
	v_cvt_f64_i32_e32 v[2:3], v2
.LBB6_241:
	s_mov_b64 s[0:1], 0
.LBB6_242:
	s_andn2_b64 vcc, exec, s[0:1]
	s_cbranch_vccnz .LBB6_244
; %bb.243:
	global_load_sshort v2, v[0:1], off
	s_waitcnt vmcnt(0)
	v_cvt_f64_i32_e32 v[2:3], v2
.LBB6_244:
	s_mov_b64 s[0:1], 0
.LBB6_245:
	s_andn2_b64 vcc, exec, s[0:1]
	s_cbranch_vccnz .LBB6_251
; %bb.246:
	s_cmp_gt_i32 s24, 0
	s_cbranch_scc0 .LBB6_248
; %bb.247:
	global_load_sbyte v2, v[0:1], off
	s_mov_b64 s[0:1], 0
	s_waitcnt vmcnt(0)
	v_cvt_f64_i32_e32 v[2:3], v2
	s_branch .LBB6_249
.LBB6_248:
	s_mov_b64 s[0:1], -1
                                        ; implicit-def: $vgpr2_vgpr3
.LBB6_249:
	s_andn2_b64 vcc, exec, s[0:1]
	s_cbranch_vccnz .LBB6_251
; %bb.250:
	global_load_ubyte v0, v[0:1], off
	s_waitcnt vmcnt(0)
	v_cvt_f64_u32_e32 v[2:3], v0
.LBB6_251:
	s_branch .LBB6_11
.LBB6_252:
	s_mov_b64 s[0:1], 0
                                        ; implicit-def: $vgpr10
	s_mov_b64 s[20:21], 0
.LBB6_253:
	s_and_b64 s[6:7], s[0:1], exec
	s_and_b64 s[16:17], s[16:17], exec
	s_orn2_b64 s[20:21], s[20:21], exec
.LBB6_254:
	s_or_b64 exec, exec, s[18:19]
	s_mov_b64 s[24:25], 0
	s_mov_b64 s[0:1], 0
                                        ; implicit-def: $vgpr0_vgpr1
                                        ; implicit-def: $vgpr2_vgpr3
	s_and_saveexec_b64 s[18:19], s[20:21]
	s_cbranch_execz .LBB6_263
; %bb.255:
	v_cmp_gt_i32_e32 vcc, s40, v10
	s_mov_b64 s[0:1], -1
	s_mov_b64 s[20:21], s[16:17]
	s_mov_b64 s[22:23], s[6:7]
	s_and_saveexec_b64 s[24:25], vcc
	s_cbranch_execz .LBB6_517
; %bb.256:
	v_mul_lo_u32 v0, v10, s13
	v_mov_b32_e32 v1, s11
	s_and_b32 s28, 0xffff, s44
	s_cmp_lt_i32 s28, 11
	s_waitcnt vmcnt(0)
	v_ashrrev_i32_e32 v2, 31, v0
	v_add_co_u32_e32 v0, vcc, s10, v0
	v_addc_co_u32_e32 v1, vcc, v1, v2, vcc
	s_cbranch_scc1 .LBB6_266
; %bb.257:
	s_cmp_gt_i32 s28, 25
	s_cbranch_scc0 .LBB6_277
; %bb.258:
	s_cmp_gt_i32 s28, 28
	s_cbranch_scc0 .LBB6_279
	;; [unrolled: 3-line block ×4, first 2 shown]
; %bb.261:
	s_cmp_eq_u32 s28, 46
	s_mov_b64 s[22:23], 0
	s_cbranch_scc0 .LBB6_289
; %bb.262:
	global_load_dword v2, v[0:1], off
	s_mov_b64 s[20:21], 0
	s_waitcnt vmcnt(0)
	v_lshlrev_b32_e32 v2, 16, v2
	v_cvt_f64_f32_e32 v[2:3], v2
	s_branch .LBB6_290
.LBB6_263:
	s_or_b64 exec, exec, s[18:19]
	s_mov_b64 s[18:19], 0
	s_and_saveexec_b64 s[20:21], s[16:17]
	s_cbranch_execnz .LBB6_865
.LBB6_264:
	s_or_b64 exec, exec, s[20:21]
	s_and_saveexec_b64 s[16:17], s[22:23]
	s_xor_b64 s[16:17], exec, s[16:17]
	s_cbranch_execz .LBB6_866
.LBB6_265:
	global_load_ubyte v3, v[0:1], off
	v_mov_b32_e32 v4, 0x3ff00000
	s_waitcnt vmcnt(1)
	v_mov_b32_e32 v2, 0
	s_or_b64 s[0:1], s[0:1], exec
	s_waitcnt vmcnt(0)
	v_cmp_ne_u16_e32 vcc, 0, v3
	v_cndmask_b32_e32 v3, 0, v4, vcc
	s_or_b64 exec, exec, s[16:17]
	s_and_saveexec_b64 s[16:17], s[24:25]
	s_cbranch_execz .LBB6_912
	s_branch .LBB6_867
.LBB6_266:
	s_mov_b64 s[0:1], 0
                                        ; implicit-def: $vgpr2_vgpr3
	s_mov_b64 s[20:21], s[16:17]
	s_cbranch_execnz .LBB6_467
.LBB6_267:
	s_andn2_b64 vcc, exec, s[0:1]
	s_cbranch_vccnz .LBB6_515
.LBB6_268:
	s_waitcnt vmcnt(0)
	v_cmp_lt_f64_e32 vcc, s[14:15], v[2:3]
	v_mov_b32_e32 v0, 0
	v_mov_b32_e32 v1, 0x3ff00000
	s_and_saveexec_b64 s[0:1], vcc
	s_cbranch_execz .LBB6_270
; %bb.269:
	s_mov_b32 s22, 0x9abcaf48
	s_mov_b32 s23, 0x3e7ad7f2
	v_add_f64 v[0:1], v[2:3], s[22:23]
	v_div_scale_f64 v[2:3], s[22:23], v[0:1], v[0:1], s[14:15]
	v_div_scale_f64 v[8:9], vcc, s[14:15], v[0:1], s[14:15]
	v_rcp_f64_e32 v[4:5], v[2:3]
	v_fma_f64 v[6:7], -v[2:3], v[4:5], 1.0
	v_fma_f64 v[4:5], v[4:5], v[6:7], v[4:5]
	v_fma_f64 v[6:7], -v[2:3], v[4:5], 1.0
	v_fma_f64 v[4:5], v[4:5], v[6:7], v[4:5]
	v_mul_f64 v[6:7], v[8:9], v[4:5]
	v_fma_f64 v[2:3], -v[2:3], v[6:7], v[8:9]
	v_div_fmas_f64 v[2:3], v[2:3], v[4:5], v[6:7]
	v_div_fixup_f64 v[0:1], v[2:3], v[0:1], s[14:15]
.LBB6_270:
	s_or_b64 exec, exec, s[0:1]
	v_mul_lo_u32 v2, v10, s12
	v_mov_b32_e32 v3, s9
	s_and_b32 s30, s33, 0xff
	s_cmp_lt_i32 s30, 11
	v_ashrrev_i32_e32 v5, 31, v2
	v_add_co_u32_e32 v4, vcc, s8, v2
	v_addc_co_u32_e32 v5, vcc, v3, v5, vcc
	s_cbranch_scc1 .LBB6_278
; %bb.271:
	s_and_b32 s31, 0xffff, s30
	s_cmp_gt_i32 s31, 25
	s_cbranch_scc0 .LBB6_280
; %bb.272:
	s_cmp_gt_i32 s31, 28
	s_cbranch_scc0 .LBB6_282
; %bb.273:
	;; [unrolled: 3-line block ×4, first 2 shown]
	s_mov_b64 s[26:27], 0
	s_mov_b64 s[0:1], -1
	s_cmp_eq_u32 s31, 46
	s_mov_b64 s[22:23], 0
	s_cbranch_scc0 .LBB6_294
; %bb.276:
	v_cvt_f32_f64_e32 v2, v[0:1]
	s_movk_i32 s0, 0x7fff
	v_mov_b32_e32 v3, 0x7fc0
	s_mov_b64 s[22:23], -1
	v_bfe_u32 v6, v2, 16, 1
	v_cmp_o_f32_e32 vcc, v2, v2
	v_add3_u32 v2, v2, v6, s0
	v_cndmask_b32_sdwa v2, v3, v2, vcc dst_sel:DWORD dst_unused:UNUSED_PAD src0_sel:DWORD src1_sel:WORD_1
	global_store_dword v[4:5], v2, off
	s_mov_b64 s[0:1], 0
	s_branch .LBB6_294
.LBB6_277:
	s_mov_b64 s[22:23], -1
	s_mov_b64 s[0:1], 0
	s_mov_b64 s[20:21], s[16:17]
                                        ; implicit-def: $vgpr2_vgpr3
	s_branch .LBB6_433
.LBB6_278:
	s_mov_b64 s[26:27], -1
	s_mov_b64 s[22:23], 0
	s_mov_b64 s[0:1], s[6:7]
	s_branch .LBB6_363
.LBB6_279:
	s_mov_b64 s[22:23], -1
	s_mov_b64 s[0:1], 0
	s_mov_b64 s[20:21], s[16:17]
                                        ; implicit-def: $vgpr2_vgpr3
	s_branch .LBB6_412
.LBB6_280:
	s_mov_b64 s[26:27], -1
	s_mov_b64 s[22:23], 0
	s_mov_b64 s[0:1], s[6:7]
	s_branch .LBB6_321
.LBB6_281:
	s_mov_b64 s[22:23], -1
	s_mov_b64 s[0:1], 0
	s_mov_b64 s[20:21], s[16:17]
                                        ; implicit-def: $vgpr2_vgpr3
	s_branch .LBB6_407
.LBB6_282:
	s_mov_b64 s[26:27], -1
	s_mov_b64 s[22:23], 0
	s_mov_b64 s[0:1], s[6:7]
	s_branch .LBB6_304
.LBB6_283:
	s_andn2_saveexec_b64 s[24:25], s[24:25]
	s_cbranch_execz .LBB6_57
.LBB6_284:
	s_mov_b32 s28, 0x46000000
	v_add_f32_e64 v3, |v2|, s28
	v_and_b32_e32 v3, 0xff, v3
	v_cmp_ne_u32_e32 vcc, 0, v3
	s_andn2_b64 s[20:21], s[20:21], exec
	s_and_b64 s[28:29], vcc, exec
	s_or_b64 s[20:21], s[20:21], s[28:29]
	s_or_b64 exec, exec, s[24:25]
	v_mov_b32_e32 v6, 0
	s_and_saveexec_b64 s[24:25], s[20:21]
	s_cbranch_execnz .LBB6_58
	s_branch .LBB6_59
.LBB6_285:
	s_mov_b64 s[22:23], -1
	s_mov_b64 s[0:1], 0
	s_mov_b64 s[20:21], s[16:17]
                                        ; implicit-def: $vgpr2_vgpr3
	s_branch .LBB6_290
.LBB6_286:
	s_mov_b64 s[26:27], -1
	s_mov_b64 s[22:23], 0
	s_mov_b64 s[0:1], s[6:7]
	s_branch .LBB6_300
.LBB6_287:
	s_andn2_saveexec_b64 s[24:25], s[24:25]
	s_cbranch_execz .LBB6_70
.LBB6_288:
	s_mov_b32 s28, 0x42800000
	v_add_f32_e64 v3, |v2|, s28
	v_and_b32_e32 v3, 0xff, v3
	v_cmp_ne_u32_e32 vcc, 0, v3
	s_andn2_b64 s[20:21], s[20:21], exec
	s_and_b64 s[28:29], vcc, exec
	s_or_b64 s[20:21], s[20:21], s[28:29]
	s_or_b64 exec, exec, s[24:25]
	v_mov_b32_e32 v6, 0
	s_and_saveexec_b64 s[24:25], s[20:21]
	s_cbranch_execnz .LBB6_71
	s_branch .LBB6_72
.LBB6_289:
	s_mov_b64 s[20:21], -1
                                        ; implicit-def: $vgpr2_vgpr3
	s_mov_b64 s[0:1], 0
.LBB6_290:
	s_and_b64 vcc, exec, s[22:23]
	s_cbranch_vccz .LBB6_406
; %bb.291:
	s_cmp_eq_u32 s28, 44
	s_cbranch_scc0 .LBB6_405
; %bb.292:
	global_load_ubyte v4, v[0:1], off
	s_movk_i32 s20, 0xff
	v_bfrev_b32_e32 v5, 4
	v_mov_b32_e32 v6, 0x7ff80000
	v_bfrev_b32_e32 v7, 28
	s_mov_b64 s[0:1], -1
	s_waitcnt vmcnt(0)
	v_lshlrev_b32_e32 v2, 23, v4
	v_cvt_f64_f32_e32 v[2:3], v2
	v_cmp_ne_u32_e32 vcc, s20, v4
	s_mov_b64 s[20:21], 0
	v_cndmask_b32_e32 v2, v5, v2, vcc
	v_cndmask_b32_e32 v3, v6, v3, vcc
	v_cmp_ne_u32_e32 vcc, 0, v4
	v_cndmask_b32_e32 v3, v7, v3, vcc
	v_cndmask_b32_e32 v2, 0, v2, vcc
	s_branch .LBB6_406
.LBB6_293:
	s_mov_b64 s[26:27], -1
	s_mov_b64 s[22:23], 0
	s_mov_b64 s[0:1], s[6:7]
.LBB6_294:
	s_and_b64 vcc, exec, s[26:27]
	s_cbranch_vccz .LBB6_299
; %bb.295:
	s_cmp_eq_u32 s31, 44
	s_mov_b64 s[0:1], -1
	s_cbranch_scc0 .LBB6_299
; %bb.296:
	v_cvt_f32_f64_e32 v2, v[0:1]
	s_movk_i32 s0, 0xff
	v_mov_b32_e32 v6, 0xff
	v_bfe_u32 v3, v2, 23, 8
	v_cmp_ne_u32_e32 vcc, s0, v3
	s_and_saveexec_b64 s[22:23], vcc
; %bb.297:
	s_mov_b32 s0, 0x3fffff
	v_lshrrev_b32_e32 v6, 23, v2
	v_and_b32_e32 v7, 0x400000, v2
	v_and_or_b32 v2, v2, s0, v3
	v_cmp_ne_u32_e32 vcc, 0, v7
	v_cmp_ne_u32_e64 s[0:1], 0, v2
	s_and_b64 s[0:1], vcc, s[0:1]
	v_cndmask_b32_e64 v2, 0, 1, s[0:1]
	v_add_u32_e32 v6, v6, v2
; %bb.298:
	s_or_b64 exec, exec, s[22:23]
	s_mov_b64 s[22:23], -1
	s_mov_b64 s[0:1], 0
	global_store_byte v[4:5], v6, off
.LBB6_299:
	s_mov_b64 s[26:27], 0
.LBB6_300:
	s_and_b64 vcc, exec, s[26:27]
	s_cbranch_vccz .LBB6_303
; %bb.301:
	s_cmp_eq_u32 s31, 29
	s_mov_b64 s[0:1], -1
	s_cbranch_scc0 .LBB6_303
; %bb.302:
	v_trunc_f64_e32 v[2:3], v[0:1]
	s_movk_i32 s0, 0xffe0
	s_mov_b64 s[22:23], -1
	s_mov_b64 s[26:27], 0
	v_ldexp_f64 v[6:7], v[2:3], s0
	s_mov_b32 s0, 0
	s_mov_b32 s1, 0xc1f00000
	v_floor_f64_e32 v[6:7], v[6:7]
	v_fma_f64 v[2:3], v[6:7], s[0:1], v[2:3]
	v_cvt_u32_f64_e32 v7, v[6:7]
	s_mov_b64 s[0:1], 0
	v_cvt_u32_f64_e32 v6, v[2:3]
	global_store_dwordx2 v[4:5], v[6:7], off
	s_branch .LBB6_304
.LBB6_303:
	s_mov_b64 s[26:27], 0
.LBB6_304:
	s_and_b64 vcc, exec, s[26:27]
	s_cbranch_vccz .LBB6_320
; %bb.305:
	s_cmp_lt_i32 s31, 27
	s_mov_b64 s[22:23], -1
	s_cbranch_scc1 .LBB6_311
; %bb.306:
	v_cvt_u32_f64_e32 v2, v[0:1]
	s_cmp_gt_i32 s31, 27
	s_cbranch_scc0 .LBB6_308
; %bb.307:
	s_mov_b64 s[22:23], 0
	global_store_dword v[4:5], v2, off
.LBB6_308:
	s_andn2_b64 vcc, exec, s[22:23]
	s_cbranch_vccnz .LBB6_310
; %bb.309:
	global_store_short v[4:5], v2, off
.LBB6_310:
	s_mov_b64 s[22:23], 0
.LBB6_311:
	s_andn2_b64 vcc, exec, s[22:23]
	s_cbranch_vccnz .LBB6_319
; %bb.312:
	v_cvt_f32_f64_e32 v2, v[0:1]
	s_mov_b32 s22, 0x43800000
	v_mov_b32_e32 v6, 0x80
	v_and_b32_e32 v3, 0x7fffffff, v2
	v_cmp_gt_u32_e32 vcc, s22, v3
	s_and_saveexec_b64 s[22:23], vcc
	s_cbranch_execz .LBB6_318
; %bb.313:
	s_mov_b32 s26, 0x3bffffff
	v_cmp_lt_u32_e32 vcc, s26, v3
	s_mov_b64 s[26:27], 0
                                        ; implicit-def: $vgpr3
	s_and_saveexec_b64 s[28:29], vcc
	s_xor_b64 s[28:29], exec, s[28:29]
	s_cbranch_execz .LBB6_530
; %bb.314:
	v_bfe_u32 v3, v2, 20, 1
	s_mov_b32 s34, 0x487ffff
	v_add3_u32 v3, v2, v3, s34
	s_mov_b64 s[26:27], exec
	v_lshrrev_b32_e32 v3, 20, v3
	s_andn2_saveexec_b64 s[28:29], s[28:29]
	s_cbranch_execnz .LBB6_531
.LBB6_315:
	s_or_b64 exec, exec, s[28:29]
	v_mov_b32_e32 v6, 0
	s_and_saveexec_b64 s[28:29], s[26:27]
.LBB6_316:
	v_lshrrev_b32_e32 v2, 24, v2
	s_movk_i32 s26, 0x80
	v_and_or_b32 v6, v2, s26, v3
.LBB6_317:
	s_or_b64 exec, exec, s[28:29]
.LBB6_318:
	s_or_b64 exec, exec, s[22:23]
	global_store_byte v[4:5], v6, off
.LBB6_319:
	s_mov_b64 s[22:23], -1
.LBB6_320:
	s_mov_b64 s[26:27], 0
.LBB6_321:
	s_and_b64 vcc, exec, s[26:27]
	s_cbranch_vccz .LBB6_362
; %bb.322:
	s_cmp_gt_i32 s31, 22
	s_mov_b64 s[26:27], -1
	s_cbranch_scc0 .LBB6_354
; %bb.323:
	s_cmp_lt_i32 s31, 24
	s_mov_b64 s[22:23], -1
	s_cbranch_scc1 .LBB6_343
; %bb.324:
	s_cmp_gt_i32 s31, 24
	s_cbranch_scc0 .LBB6_332
; %bb.325:
	v_cvt_f32_f64_e32 v2, v[0:1]
	s_mov_b32 s22, 0x47800000
	v_mov_b32_e32 v6, 0x80
	v_and_b32_e32 v3, 0x7fffffff, v2
	v_cmp_gt_u32_e32 vcc, s22, v3
	s_and_saveexec_b64 s[22:23], vcc
	s_cbranch_execz .LBB6_331
; %bb.326:
	s_mov_b32 s26, 0x37ffffff
	v_cmp_lt_u32_e32 vcc, s26, v3
	s_mov_b64 s[26:27], 0
                                        ; implicit-def: $vgpr3
	s_and_saveexec_b64 s[28:29], vcc
	s_xor_b64 s[28:29], exec, s[28:29]
	s_cbranch_execz .LBB6_533
; %bb.327:
	v_bfe_u32 v3, v2, 21, 1
	s_mov_b32 s34, 0x88fffff
	v_add3_u32 v3, v2, v3, s34
	s_mov_b64 s[26:27], exec
	v_lshrrev_b32_e32 v3, 21, v3
	s_andn2_saveexec_b64 s[28:29], s[28:29]
	s_cbranch_execnz .LBB6_534
.LBB6_328:
	s_or_b64 exec, exec, s[28:29]
	v_mov_b32_e32 v6, 0
	s_and_saveexec_b64 s[28:29], s[26:27]
.LBB6_329:
	v_lshrrev_b32_e32 v2, 24, v2
	s_movk_i32 s26, 0x80
	v_and_or_b32 v6, v2, s26, v3
.LBB6_330:
	s_or_b64 exec, exec, s[28:29]
.LBB6_331:
	s_or_b64 exec, exec, s[22:23]
	s_mov_b64 s[22:23], 0
	global_store_byte v[4:5], v6, off
.LBB6_332:
	s_and_b64 vcc, exec, s[22:23]
	s_cbranch_vccz .LBB6_342
; %bb.333:
	v_cvt_f32_f64_e32 v2, v[0:1]
	s_mov_b32 s22, 0x43f00000
                                        ; implicit-def: $vgpr3
	v_and_b32_e32 v6, 0x7fffffff, v2
	v_cmp_gt_u32_e32 vcc, s22, v6
	s_and_saveexec_b64 s[22:23], vcc
	s_xor_b64 s[22:23], exec, s[22:23]
	s_cbranch_execz .LBB6_339
; %bb.334:
	s_mov_b32 s26, 0x3c7fffff
	v_cmp_lt_u32_e32 vcc, s26, v6
                                        ; implicit-def: $vgpr3
	s_and_saveexec_b64 s[26:27], vcc
	s_xor_b64 s[26:27], exec, s[26:27]
; %bb.335:
	v_bfe_u32 v3, v2, 20, 1
	s_mov_b32 s28, 0x407ffff
	v_add3_u32 v3, v2, v3, s28
	v_lshrrev_b32_e32 v6, 20, v3
	v_and_b32_e32 v3, 0xff00000, v3
	s_mov_b32 s28, 0x7f00000
	v_mov_b32_e32 v7, 0x7e
	v_cmp_ne_u32_e32 vcc, s28, v3
	v_cndmask_b32_e32 v3, v7, v6, vcc
; %bb.336:
	s_andn2_saveexec_b64 s[26:27], s[26:27]
; %bb.337:
	s_mov_b32 s28, 0x46800000
	v_add_f32_e64 v3, |v2|, s28
; %bb.338:
	s_or_b64 exec, exec, s[26:27]
                                        ; implicit-def: $vgpr6
.LBB6_339:
	s_andn2_saveexec_b64 s[22:23], s[22:23]
; %bb.340:
	s_mov_b32 s26, 0x7f800000
	v_mov_b32_e32 v3, 0x7e
	v_mov_b32_e32 v7, 0x7f
	v_cmp_lt_u32_e32 vcc, s26, v6
	v_cndmask_b32_e32 v3, v3, v7, vcc
; %bb.341:
	s_or_b64 exec, exec, s[22:23]
	v_lshrrev_b32_e32 v2, 24, v2
	s_movk_i32 s22, 0x80
	v_and_or_b32 v2, v2, s22, v3
	global_store_byte v[4:5], v2, off
.LBB6_342:
	s_mov_b64 s[22:23], 0
.LBB6_343:
	s_andn2_b64 vcc, exec, s[22:23]
	s_cbranch_vccnz .LBB6_353
; %bb.344:
	v_cvt_f32_f64_e32 v2, v[0:1]
	s_mov_b32 s22, 0x47800000
                                        ; implicit-def: $vgpr3
	v_and_b32_e32 v6, 0x7fffffff, v2
	v_cmp_gt_u32_e32 vcc, s22, v6
	s_and_saveexec_b64 s[22:23], vcc
	s_xor_b64 s[22:23], exec, s[22:23]
	s_cbranch_execz .LBB6_350
; %bb.345:
	s_mov_b32 s26, 0x387fffff
	v_cmp_lt_u32_e32 vcc, s26, v6
                                        ; implicit-def: $vgpr3
	s_and_saveexec_b64 s[26:27], vcc
	s_xor_b64 s[26:27], exec, s[26:27]
; %bb.346:
	v_bfe_u32 v3, v2, 21, 1
	s_mov_b32 s28, 0x80fffff
	v_add3_u32 v3, v2, v3, s28
	v_lshrrev_b32_e32 v3, 21, v3
; %bb.347:
	s_andn2_saveexec_b64 s[26:27], s[26:27]
; %bb.348:
	s_mov_b32 s28, 0x43000000
	v_add_f32_e64 v3, |v2|, s28
; %bb.349:
	s_or_b64 exec, exec, s[26:27]
                                        ; implicit-def: $vgpr6
.LBB6_350:
	s_andn2_saveexec_b64 s[22:23], s[22:23]
; %bb.351:
	s_mov_b32 s26, 0x7f800000
	v_mov_b32_e32 v3, 0x7c
	v_mov_b32_e32 v7, 0x7f
	v_cmp_lt_u32_e32 vcc, s26, v6
	v_cndmask_b32_e32 v3, v3, v7, vcc
; %bb.352:
	s_or_b64 exec, exec, s[22:23]
	v_lshrrev_b32_e32 v2, 24, v2
	s_movk_i32 s22, 0x80
	v_and_or_b32 v2, v2, s22, v3
	global_store_byte v[4:5], v2, off
.LBB6_353:
	s_mov_b64 s[26:27], 0
	s_mov_b64 s[22:23], -1
.LBB6_354:
	s_andn2_b64 vcc, exec, s[26:27]
	s_cbranch_vccnz .LBB6_362
; %bb.355:
	s_cmp_gt_i32 s31, 14
	s_mov_b64 s[26:27], -1
	s_cbranch_scc0 .LBB6_359
; %bb.356:
	s_cmp_eq_u32 s31, 15
	s_mov_b64 s[0:1], -1
	s_cbranch_scc0 .LBB6_358
; %bb.357:
	v_cvt_f32_f64_e32 v2, v[0:1]
	s_movk_i32 s0, 0x7fff
	v_mov_b32_e32 v3, 0x7fc0
	s_mov_b64 s[22:23], -1
	v_bfe_u32 v6, v2, 16, 1
	v_cmp_o_f32_e32 vcc, v2, v2
	v_add3_u32 v2, v2, v6, s0
	v_cndmask_b32_sdwa v2, v3, v2, vcc dst_sel:DWORD dst_unused:UNUSED_PAD src0_sel:DWORD src1_sel:WORD_1
	global_store_short v[4:5], v2, off
	s_mov_b64 s[0:1], 0
.LBB6_358:
	s_mov_b64 s[26:27], 0
.LBB6_359:
	s_and_b64 vcc, exec, s[26:27]
	s_cbranch_vccz .LBB6_362
; %bb.360:
	s_cmp_eq_u32 s31, 11
	s_mov_b64 s[0:1], -1
	s_cbranch_scc0 .LBB6_362
; %bb.361:
	v_cmp_neq_f64_e32 vcc, 0, v[0:1]
	s_mov_b64 s[0:1], 0
	s_mov_b64 s[22:23], -1
	v_cndmask_b32_e64 v2, 0, 1, vcc
	global_store_byte v[4:5], v2, off
.LBB6_362:
	s_mov_b64 s[26:27], 0
.LBB6_363:
	s_and_b64 vcc, exec, s[26:27]
	s_cbranch_vccz .LBB6_402
; %bb.364:
	s_and_b32 s26, 0xffff, s30
	s_cmp_lt_i32 s26, 5
	s_mov_b64 s[22:23], -1
	s_cbranch_scc1 .LBB6_385
; %bb.365:
	s_cmp_lt_i32 s26, 8
	s_cbranch_scc1 .LBB6_375
; %bb.366:
	s_cmp_lt_i32 s26, 9
	s_cbranch_scc1 .LBB6_372
; %bb.367:
	s_cmp_gt_i32 s26, 9
	s_cbranch_scc0 .LBB6_369
; %bb.368:
	v_mov_b32_e32 v2, 0
	v_mov_b32_e32 v3, v2
	s_mov_b64 s[22:23], 0
	global_store_dwordx4 v[4:5], v[0:3], off
.LBB6_369:
	s_andn2_b64 vcc, exec, s[22:23]
	s_cbranch_vccnz .LBB6_371
; %bb.370:
	v_cvt_f32_f64_e32 v2, v[0:1]
	v_mov_b32_e32 v3, 0
	global_store_dwordx2 v[4:5], v[2:3], off
.LBB6_371:
	s_mov_b64 s[22:23], 0
.LBB6_372:
	s_andn2_b64 vcc, exec, s[22:23]
	s_cbranch_vccnz .LBB6_374
; %bb.373:
	s_movk_i32 s22, 0x1ff
	v_and_or_b32 v2, v1, s22, v0
	v_cmp_ne_u32_e32 vcc, 0, v2
	v_cndmask_b32_e64 v2, 0, 1, vcc
	v_lshrrev_b32_e32 v3, 8, v1
	s_movk_i32 s22, 0xffe
	v_bfe_u32 v6, v1, 20, 11
	v_and_or_b32 v2, v3, s22, v2
	v_sub_u32_e32 v7, 0x3f1, v6
	v_or_b32_e32 v3, 0x1000, v2
	v_med3_i32 v7, v7, 0, 13
	v_lshrrev_b32_e32 v8, v7, v3
	v_lshlrev_b32_e32 v7, v7, v8
	v_cmp_ne_u32_e32 vcc, v7, v3
	v_cndmask_b32_e64 v3, 0, 1, vcc
	v_add_u32_e32 v6, 0xfffffc10, v6
	v_or_b32_e32 v3, v8, v3
	v_lshl_or_b32 v7, v6, 12, v2
	v_cmp_gt_i32_e32 vcc, 1, v6
	v_cndmask_b32_e32 v3, v7, v3, vcc
	v_and_b32_e32 v7, 7, v3
	v_cmp_lt_i32_e32 vcc, 5, v7
	v_cndmask_b32_e64 v8, 0, 1, vcc
	v_cmp_eq_u32_e32 vcc, 3, v7
	v_cndmask_b32_e64 v7, 0, 1, vcc
	v_or_b32_e32 v7, v7, v8
	v_lshrrev_b32_e32 v3, 2, v3
	v_add_u32_e32 v3, v3, v7
	v_mov_b32_e32 v7, 0x7c00
	v_cmp_gt_i32_e32 vcc, 31, v6
	v_cndmask_b32_e32 v3, v7, v3, vcc
	v_mov_b32_e32 v8, 0x7e00
	v_cmp_ne_u32_e32 vcc, 0, v2
	s_movk_i32 s22, 0x40f
	v_cndmask_b32_e32 v2, v7, v8, vcc
	v_cmp_eq_u32_e32 vcc, s22, v6
	v_cndmask_b32_e32 v2, v3, v2, vcc
	v_lshrrev_b32_e32 v3, 16, v1
	s_mov_b32 s22, 0x8000
	v_and_or_b32 v2, v3, s22, v2
	v_and_b32_e32 v2, 0xffff, v2
	global_store_dword v[4:5], v2, off
.LBB6_374:
	s_mov_b64 s[22:23], 0
.LBB6_375:
	s_andn2_b64 vcc, exec, s[22:23]
	s_cbranch_vccnz .LBB6_384
; %bb.376:
	s_cmp_lt_i32 s26, 6
	s_mov_b64 s[22:23], -1
	s_cbranch_scc1 .LBB6_382
; %bb.377:
	s_cmp_gt_i32 s26, 6
	s_cbranch_scc0 .LBB6_379
; %bb.378:
	s_mov_b64 s[22:23], 0
	global_store_dwordx2 v[4:5], v[0:1], off
.LBB6_379:
	s_andn2_b64 vcc, exec, s[22:23]
	s_cbranch_vccnz .LBB6_381
; %bb.380:
	v_cvt_f32_f64_e32 v2, v[0:1]
	global_store_dword v[4:5], v2, off
.LBB6_381:
	s_mov_b64 s[22:23], 0
.LBB6_382:
	s_andn2_b64 vcc, exec, s[22:23]
	s_cbranch_vccnz .LBB6_384
; %bb.383:
	s_movk_i32 s22, 0x1ff
	v_and_or_b32 v2, v1, s22, v0
	v_cmp_ne_u32_e32 vcc, 0, v2
	v_cndmask_b32_e64 v2, 0, 1, vcc
	v_lshrrev_b32_e32 v3, 8, v1
	s_movk_i32 s22, 0xffe
	v_bfe_u32 v6, v1, 20, 11
	v_and_or_b32 v2, v3, s22, v2
	v_sub_u32_e32 v7, 0x3f1, v6
	v_or_b32_e32 v3, 0x1000, v2
	v_med3_i32 v7, v7, 0, 13
	v_lshrrev_b32_e32 v8, v7, v3
	v_lshlrev_b32_e32 v7, v7, v8
	v_cmp_ne_u32_e32 vcc, v7, v3
	v_cndmask_b32_e64 v3, 0, 1, vcc
	v_add_u32_e32 v6, 0xfffffc10, v6
	v_or_b32_e32 v3, v8, v3
	v_lshl_or_b32 v7, v6, 12, v2
	v_cmp_gt_i32_e32 vcc, 1, v6
	v_cndmask_b32_e32 v3, v7, v3, vcc
	v_and_b32_e32 v7, 7, v3
	v_cmp_lt_i32_e32 vcc, 5, v7
	v_cndmask_b32_e64 v8, 0, 1, vcc
	v_cmp_eq_u32_e32 vcc, 3, v7
	v_cndmask_b32_e64 v7, 0, 1, vcc
	v_or_b32_e32 v7, v7, v8
	v_lshrrev_b32_e32 v3, 2, v3
	v_add_u32_e32 v3, v3, v7
	v_mov_b32_e32 v7, 0x7c00
	v_cmp_gt_i32_e32 vcc, 31, v6
	v_cndmask_b32_e32 v3, v7, v3, vcc
	v_mov_b32_e32 v8, 0x7e00
	v_cmp_ne_u32_e32 vcc, 0, v2
	s_movk_i32 s22, 0x40f
	v_cndmask_b32_e32 v2, v7, v8, vcc
	v_cmp_eq_u32_e32 vcc, s22, v6
	v_cndmask_b32_e32 v2, v3, v2, vcc
	v_lshrrev_b32_e32 v3, 16, v1
	s_mov_b32 s22, 0x8000
	v_and_or_b32 v2, v3, s22, v2
	global_store_short v[4:5], v2, off
.LBB6_384:
	s_mov_b64 s[22:23], 0
.LBB6_385:
	s_andn2_b64 vcc, exec, s[22:23]
	s_cbranch_vccnz .LBB6_401
; %bb.386:
	s_cmp_lt_i32 s26, 2
	s_mov_b64 s[22:23], -1
	s_cbranch_scc1 .LBB6_396
; %bb.387:
	s_cmp_lt_i32 s26, 3
	s_cbranch_scc1 .LBB6_393
; %bb.388:
	s_cmp_gt_i32 s26, 3
	s_cbranch_scc0 .LBB6_390
; %bb.389:
	v_trunc_f64_e32 v[2:3], v[0:1]
	s_movk_i32 s22, 0xffe0
	v_ldexp_f64 v[6:7], v[2:3], s22
	s_mov_b32 s22, 0
	s_mov_b32 s23, 0xc1f00000
	v_floor_f64_e32 v[6:7], v[6:7]
	v_fma_f64 v[2:3], v[6:7], s[22:23], v[2:3]
	v_cvt_i32_f64_e32 v7, v[6:7]
	s_mov_b64 s[22:23], 0
	v_cvt_u32_f64_e32 v6, v[2:3]
	global_store_dwordx2 v[4:5], v[6:7], off
.LBB6_390:
	s_andn2_b64 vcc, exec, s[22:23]
	s_cbranch_vccnz .LBB6_392
; %bb.391:
	v_cvt_i32_f64_e32 v2, v[0:1]
	global_store_dword v[4:5], v2, off
.LBB6_392:
	s_mov_b64 s[22:23], 0
.LBB6_393:
	s_andn2_b64 vcc, exec, s[22:23]
	s_cbranch_vccnz .LBB6_395
; %bb.394:
	v_cvt_i32_f64_e32 v2, v[0:1]
	global_store_short v[4:5], v2, off
.LBB6_395:
	s_mov_b64 s[22:23], 0
.LBB6_396:
	s_andn2_b64 vcc, exec, s[22:23]
	s_cbranch_vccnz .LBB6_401
; %bb.397:
	s_cmp_gt_i32 s26, 0
	s_mov_b64 s[22:23], -1
	s_cbranch_scc0 .LBB6_399
; %bb.398:
	v_cvt_i32_f64_e32 v2, v[0:1]
	s_mov_b64 s[22:23], 0
	global_store_byte v[4:5], v2, off
.LBB6_399:
	s_andn2_b64 vcc, exec, s[22:23]
	s_cbranch_vccnz .LBB6_401
; %bb.400:
	v_trunc_f64_e32 v[0:1], v[0:1]
	s_movk_i32 s22, 0xffe0
	v_ldexp_f64 v[2:3], v[0:1], s22
	s_mov_b32 s22, 0
	s_mov_b32 s23, 0xc1f00000
	v_floor_f64_e32 v[2:3], v[2:3]
	v_fma_f64 v[0:1], v[2:3], s[22:23], v[0:1]
	v_cvt_u32_f64_e32 v0, v[0:1]
	global_store_byte v[4:5], v0, off
.LBB6_401:
	s_mov_b64 s[22:23], -1
.LBB6_402:
	s_andn2_b64 vcc, exec, s[22:23]
	s_cbranch_vccnz .LBB6_404
; %bb.403:
	v_add_u32_e32 v10, 0x80, v10
	s_mov_b64 s[26:27], -1
	s_branch .LBB6_516
.LBB6_404:
	s_mov_b64 s[26:27], 0
                                        ; implicit-def: $vgpr10
	s_branch .LBB6_516
.LBB6_405:
	s_mov_b64 s[20:21], -1
                                        ; implicit-def: $vgpr2_vgpr3
.LBB6_406:
	s_mov_b64 s[22:23], 0
.LBB6_407:
	s_and_b64 vcc, exec, s[22:23]
	s_cbranch_vccz .LBB6_411
; %bb.408:
	s_cmp_eq_u32 s28, 29
	s_cbranch_scc0 .LBB6_410
; %bb.409:
	global_load_dwordx2 v[2:3], v[0:1], off
	s_mov_b64 s[0:1], -1
	s_mov_b64 s[20:21], 0
	s_mov_b64 s[22:23], 0
	s_waitcnt vmcnt(0)
	v_cvt_f64_u32_e32 v[3:4], v3
	v_cvt_f64_u32_e32 v[5:6], v2
	v_ldexp_f64 v[3:4], v[3:4], 32
	v_add_f64 v[2:3], v[3:4], v[5:6]
	s_branch .LBB6_412
.LBB6_410:
	s_mov_b64 s[20:21], -1
                                        ; implicit-def: $vgpr2_vgpr3
.LBB6_411:
	s_mov_b64 s[22:23], 0
.LBB6_412:
	s_and_b64 vcc, exec, s[22:23]
	s_cbranch_vccz .LBB6_432
; %bb.413:
	s_cmp_lt_i32 s28, 27
	s_cbranch_scc1 .LBB6_416
; %bb.414:
	s_cmp_gt_i32 s28, 27
	s_cbranch_scc0 .LBB6_417
; %bb.415:
	global_load_dword v2, v[0:1], off
	s_mov_b64 s[0:1], 0
	s_waitcnt vmcnt(0)
	v_cvt_f64_u32_e32 v[2:3], v2
	s_branch .LBB6_418
.LBB6_416:
	s_mov_b64 s[0:1], -1
                                        ; implicit-def: $vgpr2_vgpr3
	s_branch .LBB6_421
.LBB6_417:
	s_mov_b64 s[0:1], -1
                                        ; implicit-def: $vgpr2_vgpr3
.LBB6_418:
	s_andn2_b64 vcc, exec, s[0:1]
	s_cbranch_vccnz .LBB6_420
; %bb.419:
	global_load_ushort v2, v[0:1], off
	s_waitcnt vmcnt(0)
	v_cvt_f64_u32_e32 v[2:3], v2
.LBB6_420:
	s_mov_b64 s[0:1], 0
.LBB6_421:
	s_andn2_b64 vcc, exec, s[0:1]
	s_cbranch_vccnz .LBB6_431
; %bb.422:
	global_load_ubyte v4, v[0:1], off
	s_movk_i32 s0, 0x7f
	s_waitcnt vmcnt(0)
	v_cmp_lt_i16_e32 vcc, s0, v4
	s_mov_b64 s[0:1], 0
	s_and_saveexec_b64 s[22:23], vcc
	s_xor_b64 s[22:23], exec, s[22:23]
	s_cbranch_execz .LBB6_426
; %bb.423:
	s_movk_i32 s0, 0x80
	v_cmp_eq_u16_e32 vcc, s0, v4
	s_mov_b64 s[0:1], -1
	s_and_saveexec_b64 s[26:27], vcc
; %bb.424:
	s_xor_b64 s[0:1], exec, -1
; %bb.425:
	s_or_b64 exec, exec, s[26:27]
	s_and_b64 s[0:1], s[0:1], exec
.LBB6_426:
	s_or_saveexec_b64 s[22:23], s[22:23]
	v_bfrev_b32_e32 v2, 4
	v_mov_b32_e32 v3, 0x7ff80000
	s_xor_b64 exec, exec, s[22:23]
; %bb.427:
	v_cmp_ne_u16_e32 vcc, 0, v4
	v_mov_b32_e32 v2, 0
	s_andn2_b64 s[0:1], s[0:1], exec
	s_and_b64 s[26:27], vcc, exec
	v_mov_b32_e32 v3, 0
	s_or_b64 s[0:1], s[0:1], s[26:27]
; %bb.428:
	s_or_b64 exec, exec, s[22:23]
	s_and_saveexec_b64 s[22:23], s[0:1]
	s_cbranch_execz .LBB6_430
; %bb.429:
	v_and_b32_e32 v3, 0xffff, v4
	v_lshlrev_b32_e32 v2, 24, v4
	v_and_b32_e32 v4, 7, v3
	v_ffbh_u32_e32 v6, v4
	v_min_u32_e32 v6, 32, v6
	v_subrev_u32_e32 v7, 28, v6
	v_bfe_u32 v5, v3, 3, 4
	v_lshlrev_b32_e32 v3, v7, v3
	v_sub_u32_e32 v6, 29, v6
	v_and_b32_e32 v3, 7, v3
	v_cmp_eq_u32_e32 vcc, 0, v5
	v_cndmask_b32_e32 v5, v5, v6, vcc
	v_cndmask_b32_e32 v3, v4, v3, vcc
	v_mov_b32_e32 v4, 0x3b800000
	v_lshlrev_b32_e32 v3, 20, v3
	v_and_b32_e32 v2, 0x80000000, v2
	v_lshl_add_u32 v4, v5, 23, v4
	v_or3_b32 v2, v2, v4, v3
	v_cvt_f64_f32_e32 v[2:3], v2
.LBB6_430:
	s_or_b64 exec, exec, s[22:23]
.LBB6_431:
	s_mov_b64 s[0:1], -1
.LBB6_432:
	s_mov_b64 s[22:23], 0
.LBB6_433:
	s_and_b64 vcc, exec, s[22:23]
	s_cbranch_vccz .LBB6_466
; %bb.434:
	s_cmp_gt_i32 s28, 22
	s_cbranch_scc0 .LBB6_446
; %bb.435:
	s_cmp_lt_i32 s28, 24
	s_cbranch_scc1 .LBB6_447
; %bb.436:
	s_cmp_gt_i32 s28, 24
	s_cbranch_scc0 .LBB6_448
; %bb.437:
	global_load_ubyte v4, v[0:1], off
	s_movk_i32 s0, 0x7f
	s_waitcnt vmcnt(0)
	v_cmp_lt_i16_e32 vcc, s0, v4
	s_mov_b64 s[0:1], 0
	s_and_saveexec_b64 s[22:23], vcc
	s_xor_b64 s[22:23], exec, s[22:23]
	s_cbranch_execz .LBB6_441
; %bb.438:
	s_movk_i32 s0, 0x80
	v_cmp_eq_u16_e32 vcc, s0, v4
	s_mov_b64 s[0:1], -1
	s_and_saveexec_b64 s[26:27], vcc
; %bb.439:
	s_xor_b64 s[0:1], exec, -1
; %bb.440:
	s_or_b64 exec, exec, s[26:27]
	s_and_b64 s[0:1], s[0:1], exec
.LBB6_441:
	s_or_saveexec_b64 s[22:23], s[22:23]
	v_bfrev_b32_e32 v2, 4
	v_mov_b32_e32 v3, 0x7ff80000
	s_xor_b64 exec, exec, s[22:23]
; %bb.442:
	v_cmp_ne_u16_e32 vcc, 0, v4
	v_mov_b32_e32 v2, 0
	s_andn2_b64 s[0:1], s[0:1], exec
	s_and_b64 s[26:27], vcc, exec
	v_mov_b32_e32 v3, 0
	s_or_b64 s[0:1], s[0:1], s[26:27]
; %bb.443:
	s_or_b64 exec, exec, s[22:23]
	s_and_saveexec_b64 s[22:23], s[0:1]
	s_cbranch_execz .LBB6_445
; %bb.444:
	v_and_b32_e32 v3, 0xffff, v4
	v_lshlrev_b32_e32 v2, 24, v4
	v_and_b32_e32 v4, 3, v3
	v_ffbh_u32_e32 v6, v4
	v_min_u32_e32 v6, 32, v6
	v_subrev_u32_e32 v7, 29, v6
	v_bfe_u32 v5, v3, 2, 5
	v_lshlrev_b32_e32 v3, v7, v3
	v_sub_u32_e32 v6, 30, v6
	v_and_b32_e32 v3, 3, v3
	v_cmp_eq_u32_e32 vcc, 0, v5
	v_cndmask_b32_e32 v5, v5, v6, vcc
	v_cndmask_b32_e32 v3, v4, v3, vcc
	v_mov_b32_e32 v4, 0x37800000
	v_lshlrev_b32_e32 v3, 21, v3
	v_and_b32_e32 v2, 0x80000000, v2
	v_lshl_add_u32 v4, v5, 23, v4
	v_or3_b32 v2, v2, v4, v3
	v_cvt_f64_f32_e32 v[2:3], v2
.LBB6_445:
	s_or_b64 exec, exec, s[22:23]
	s_mov_b64 s[0:1], 0
	s_branch .LBB6_449
.LBB6_446:
	s_mov_b64 s[22:23], -1
                                        ; implicit-def: $vgpr2_vgpr3
	s_branch .LBB6_455
.LBB6_447:
	s_mov_b64 s[0:1], -1
                                        ; implicit-def: $vgpr2_vgpr3
	s_branch .LBB6_452
.LBB6_448:
	s_mov_b64 s[0:1], -1
                                        ; implicit-def: $vgpr2_vgpr3
.LBB6_449:
	s_and_b64 vcc, exec, s[0:1]
	s_cbranch_vccz .LBB6_451
; %bb.450:
	global_load_ubyte v2, v[0:1], off
	s_mov_b32 s0, 0x7f800000
	s_waitcnt vmcnt(0)
	v_lshlrev_b32_e32 v2, 24, v2
	v_and_b32_e32 v3, 0x7f000000, v2
	v_ffbh_u32_e32 v4, v3
	v_min_u32_e32 v4, 32, v4
	v_sub_u32_e64 v4, v4, 4 clamp
	v_lshlrev_b32_e32 v6, v4, v3
	v_lshlrev_b32_e32 v4, 23, v4
	v_lshrrev_b32_e32 v6, 4, v6
	v_add_u32_e32 v5, 0x1000000, v3
	v_sub_u32_e32 v4, v6, v4
	v_ashrrev_i32_e32 v5, 8, v5
	v_add_u32_e32 v4, 0x3c000000, v4
	v_and_or_b32 v4, v5, s0, v4
	v_cmp_ne_u32_e32 vcc, 0, v3
	v_cndmask_b32_e32 v3, 0, v4, vcc
	s_brev_b32 s0, 1
	v_and_or_b32 v2, v2, s0, v3
	v_cvt_f64_f32_e32 v[2:3], v2
.LBB6_451:
	s_mov_b64 s[0:1], 0
.LBB6_452:
	s_andn2_b64 vcc, exec, s[0:1]
	s_cbranch_vccnz .LBB6_454
; %bb.453:
	global_load_ubyte v2, v[0:1], off
	s_movk_i32 s0, 0x7f00
	s_brev_b32 s1, 16
	s_waitcnt vmcnt(0)
	v_lshlrev_b16_e32 v3, 8, v2
	v_lshlrev_b32_e32 v2, 25, v2
	v_lshrrev_b32_e32 v4, 4, v2
	v_and_or_b32 v5, v3, s0, 0.5
	v_or_b32_e32 v4, 0x70000000, v4
	v_add_f32_e32 v5, -0.5, v5
	v_mul_f32_e32 v4, 0x7800000, v4
	v_cmp_gt_u32_e32 vcc, s1, v2
	v_bfe_i32 v3, v3, 0, 16
	v_cndmask_b32_e32 v2, v4, v5, vcc
	s_brev_b32 s0, 1
	v_and_or_b32 v2, v3, s0, v2
	v_cvt_f64_f32_e32 v[2:3], v2
.LBB6_454:
	s_mov_b64 s[22:23], 0
	s_mov_b64 s[0:1], -1
.LBB6_455:
	s_andn2_b64 vcc, exec, s[22:23]
	s_cbranch_vccnz .LBB6_466
; %bb.456:
	s_cmp_gt_i32 s28, 14
	s_cbranch_scc0 .LBB6_459
; %bb.457:
	s_cmp_eq_u32 s28, 15
	s_cbranch_scc0 .LBB6_460
; %bb.458:
	global_load_ushort v2, v[0:1], off
	s_mov_b64 s[0:1], -1
	s_mov_b64 s[20:21], 0
	s_waitcnt vmcnt(0)
	v_lshlrev_b32_e32 v2, 16, v2
	v_cvt_f64_f32_e32 v[2:3], v2
	s_branch .LBB6_461
.LBB6_459:
	s_mov_b64 s[22:23], -1
                                        ; implicit-def: $vgpr2_vgpr3
	s_branch .LBB6_462
.LBB6_460:
	s_mov_b64 s[20:21], -1
                                        ; implicit-def: $vgpr2_vgpr3
.LBB6_461:
	s_mov_b64 s[22:23], 0
.LBB6_462:
	s_and_b64 vcc, exec, s[22:23]
	s_cbranch_vccz .LBB6_466
; %bb.463:
	s_cmp_eq_u32 s28, 11
	s_cbranch_scc0 .LBB6_465
; %bb.464:
	global_load_ubyte v3, v[0:1], off
	v_mov_b32_e32 v4, 0x3ff00000
	v_mov_b32_e32 v2, 0
	s_mov_b64 s[0:1], -1
	s_mov_b64 s[20:21], 0
	s_waitcnt vmcnt(0)
	v_cmp_ne_u16_e32 vcc, 0, v3
	v_cndmask_b32_e32 v3, 0, v4, vcc
	s_branch .LBB6_466
.LBB6_465:
	s_mov_b64 s[20:21], -1
                                        ; implicit-def: $vgpr2_vgpr3
.LBB6_466:
	s_branch .LBB6_267
.LBB6_467:
	s_cmp_lt_i32 s28, 5
	s_cbranch_scc1 .LBB6_472
; %bb.468:
	s_cmp_lt_i32 s28, 8
	s_cbranch_scc1 .LBB6_473
; %bb.469:
	;; [unrolled: 3-line block ×3, first 2 shown]
	s_cmp_gt_i32 s28, 9
	s_cbranch_scc0 .LBB6_475
; %bb.471:
	global_load_dwordx2 v[2:3], v[0:1], off
	s_mov_b64 s[0:1], 0
	s_branch .LBB6_476
.LBB6_472:
	s_mov_b64 s[0:1], -1
                                        ; implicit-def: $vgpr2_vgpr3
	s_branch .LBB6_494
.LBB6_473:
	s_mov_b64 s[0:1], -1
                                        ; implicit-def: $vgpr2_vgpr3
	s_branch .LBB6_482
.LBB6_474:
	s_mov_b64 s[0:1], -1
                                        ; implicit-def: $vgpr2_vgpr3
	s_branch .LBB6_479
.LBB6_475:
	s_mov_b64 s[0:1], -1
                                        ; implicit-def: $vgpr2_vgpr3
.LBB6_476:
	s_andn2_b64 vcc, exec, s[0:1]
	s_cbranch_vccnz .LBB6_478
; %bb.477:
	global_load_dword v2, v[0:1], off
	s_waitcnt vmcnt(0)
	v_cvt_f64_f32_e32 v[2:3], v2
.LBB6_478:
	s_mov_b64 s[0:1], 0
.LBB6_479:
	s_andn2_b64 vcc, exec, s[0:1]
	s_cbranch_vccnz .LBB6_481
; %bb.480:
	global_load_dword v2, v[0:1], off
	s_waitcnt vmcnt(0)
	v_cvt_f32_f16_e32 v2, v2
	v_cvt_f64_f32_e32 v[2:3], v2
.LBB6_481:
	s_mov_b64 s[0:1], 0
.LBB6_482:
	s_andn2_b64 vcc, exec, s[0:1]
	s_cbranch_vccnz .LBB6_493
; %bb.483:
	s_cmp_lt_i32 s28, 6
	s_cbranch_scc1 .LBB6_486
; %bb.484:
	s_cmp_gt_i32 s28, 6
	s_cbranch_scc0 .LBB6_487
; %bb.485:
	global_load_dwordx2 v[2:3], v[0:1], off
	s_mov_b64 s[0:1], 0
	s_branch .LBB6_488
.LBB6_486:
	s_mov_b64 s[0:1], -1
                                        ; implicit-def: $vgpr2_vgpr3
	s_branch .LBB6_491
.LBB6_487:
	s_mov_b64 s[0:1], -1
                                        ; implicit-def: $vgpr2_vgpr3
.LBB6_488:
	s_andn2_b64 vcc, exec, s[0:1]
	s_cbranch_vccnz .LBB6_490
; %bb.489:
	global_load_dword v2, v[0:1], off
	s_waitcnt vmcnt(0)
	v_cvt_f64_f32_e32 v[2:3], v2
.LBB6_490:
	s_mov_b64 s[0:1], 0
.LBB6_491:
	s_andn2_b64 vcc, exec, s[0:1]
	s_cbranch_vccnz .LBB6_493
; %bb.492:
	global_load_ushort v2, v[0:1], off
	s_waitcnt vmcnt(0)
	v_cvt_f32_f16_e32 v2, v2
	v_cvt_f64_f32_e32 v[2:3], v2
.LBB6_493:
	s_mov_b64 s[0:1], 0
.LBB6_494:
	s_andn2_b64 vcc, exec, s[0:1]
	s_cbranch_vccnz .LBB6_514
; %bb.495:
	s_cmp_lt_i32 s28, 2
	s_cbranch_scc1 .LBB6_499
; %bb.496:
	s_cmp_lt_i32 s28, 3
	s_cbranch_scc1 .LBB6_500
; %bb.497:
	s_cmp_gt_i32 s28, 3
	s_cbranch_scc0 .LBB6_501
; %bb.498:
	global_load_dwordx2 v[2:3], v[0:1], off
	s_mov_b64 s[0:1], 0
	s_waitcnt vmcnt(0)
	v_cvt_f64_i32_e32 v[3:4], v3
	v_cvt_f64_u32_e32 v[5:6], v2
	v_ldexp_f64 v[3:4], v[3:4], 32
	v_add_f64 v[2:3], v[3:4], v[5:6]
	s_branch .LBB6_502
.LBB6_499:
	s_mov_b64 s[0:1], -1
                                        ; implicit-def: $vgpr2_vgpr3
	s_branch .LBB6_508
.LBB6_500:
	s_mov_b64 s[0:1], -1
                                        ; implicit-def: $vgpr2_vgpr3
	s_branch .LBB6_505
.LBB6_501:
	s_mov_b64 s[0:1], -1
                                        ; implicit-def: $vgpr2_vgpr3
.LBB6_502:
	s_andn2_b64 vcc, exec, s[0:1]
	s_cbranch_vccnz .LBB6_504
; %bb.503:
	global_load_dword v2, v[0:1], off
	s_waitcnt vmcnt(0)
	v_cvt_f64_i32_e32 v[2:3], v2
.LBB6_504:
	s_mov_b64 s[0:1], 0
.LBB6_505:
	s_andn2_b64 vcc, exec, s[0:1]
	s_cbranch_vccnz .LBB6_507
; %bb.506:
	global_load_sshort v2, v[0:1], off
	s_waitcnt vmcnt(0)
	v_cvt_f64_i32_e32 v[2:3], v2
.LBB6_507:
	s_mov_b64 s[0:1], 0
.LBB6_508:
	s_andn2_b64 vcc, exec, s[0:1]
	s_cbranch_vccnz .LBB6_514
; %bb.509:
	s_cmp_gt_i32 s28, 0
	s_cbranch_scc0 .LBB6_511
; %bb.510:
	global_load_sbyte v2, v[0:1], off
	s_mov_b64 s[0:1], 0
	s_waitcnt vmcnt(0)
	v_cvt_f64_i32_e32 v[2:3], v2
	s_branch .LBB6_512
.LBB6_511:
	s_mov_b64 s[0:1], -1
                                        ; implicit-def: $vgpr2_vgpr3
.LBB6_512:
	s_andn2_b64 vcc, exec, s[0:1]
	s_cbranch_vccnz .LBB6_514
; %bb.513:
	global_load_ubyte v0, v[0:1], off
	s_waitcnt vmcnt(0)
	v_cvt_f64_u32_e32 v[2:3], v0
.LBB6_514:
	s_branch .LBB6_268
.LBB6_515:
	s_mov_b64 s[26:27], 0
                                        ; implicit-def: $vgpr10
	s_mov_b64 s[0:1], s[6:7]
.LBB6_516:
	s_andn2_b64 s[22:23], s[6:7], exec
	s_and_b64 s[0:1], s[0:1], exec
	s_or_b64 s[22:23], s[22:23], s[0:1]
	s_andn2_b64 s[0:1], s[16:17], exec
	s_and_b64 s[20:21], s[20:21], exec
	s_or_b64 s[20:21], s[0:1], s[20:21]
	s_orn2_b64 s[0:1], s[26:27], exec
.LBB6_517:
	s_or_b64 exec, exec, s[24:25]
	s_mov_b64 s[26:27], 0
	s_mov_b64 s[28:29], 0
	;; [unrolled: 1-line block ×3, first 2 shown]
                                        ; implicit-def: $vgpr0_vgpr1
                                        ; implicit-def: $vgpr2_vgpr3
	s_and_saveexec_b64 s[24:25], s[0:1]
	s_cbranch_execz .LBB6_864
; %bb.518:
	v_cmp_gt_i32_e32 vcc, s40, v10
	s_mov_b64 s[36:37], -1
	s_mov_b64 s[0:1], s[20:21]
	s_mov_b64 s[30:31], s[22:23]
	s_and_saveexec_b64 s[26:27], vcc
	s_cbranch_execz .LBB6_778
; %bb.519:
	v_mul_lo_u32 v0, v10, s13
	v_mov_b32_e32 v1, s11
	s_and_b32 s36, 0xffff, s44
	s_cmp_lt_i32 s36, 11
	s_waitcnt vmcnt(0)
	v_ashrrev_i32_e32 v2, 31, v0
	v_add_co_u32_e32 v0, vcc, s10, v0
	v_addc_co_u32_e32 v1, vcc, v1, v2, vcc
	s_cbranch_scc1 .LBB6_526
; %bb.520:
	s_cmp_gt_i32 s36, 25
	s_cbranch_scc0 .LBB6_527
; %bb.521:
	s_cmp_gt_i32 s36, 28
	s_cbranch_scc0 .LBB6_528
	;; [unrolled: 3-line block ×4, first 2 shown]
; %bb.524:
	s_cmp_eq_u32 s36, 46
	s_mov_b64 s[30:31], 0
	s_cbranch_scc0 .LBB6_535
; %bb.525:
	global_load_dword v2, v[0:1], off
	s_mov_b64 s[0:1], -1
	s_waitcnt vmcnt(0)
	v_lshlrev_b32_e32 v2, 16, v2
	v_cvt_f64_f32_e32 v[2:3], v2
	s_branch .LBB6_536
.LBB6_526:
	s_mov_b64 s[30:31], -1
	s_mov_b64 s[0:1], 0
                                        ; implicit-def: $vgpr2_vgpr3
	s_mov_b64 s[28:29], s[20:21]
	s_branch .LBB6_601
.LBB6_527:
	s_mov_b64 s[30:31], -1
	s_mov_b64 s[0:1], 0
	s_mov_b64 s[28:29], s[20:21]
                                        ; implicit-def: $vgpr2_vgpr3
	s_branch .LBB6_567
.LBB6_528:
	s_mov_b64 s[30:31], -1
	s_mov_b64 s[0:1], 0
	s_mov_b64 s[28:29], s[20:21]
                                        ; implicit-def: $vgpr2_vgpr3
	s_branch .LBB6_546
.LBB6_529:
	s_mov_b64 s[30:31], -1
	s_mov_b64 s[0:1], 0
	s_mov_b64 s[28:29], s[20:21]
                                        ; implicit-def: $vgpr2_vgpr3
	s_branch .LBB6_541
.LBB6_530:
	s_andn2_saveexec_b64 s[28:29], s[28:29]
	s_cbranch_execz .LBB6_315
.LBB6_531:
	s_mov_b32 s34, 0x46000000
	v_add_f32_e64 v3, |v2|, s34
	v_and_b32_e32 v3, 0xff, v3
	v_cmp_ne_u32_e32 vcc, 0, v3
	s_andn2_b64 s[26:27], s[26:27], exec
	s_and_b64 s[34:35], vcc, exec
	s_or_b64 s[26:27], s[26:27], s[34:35]
	s_or_b64 exec, exec, s[28:29]
	v_mov_b32_e32 v6, 0
	s_and_saveexec_b64 s[28:29], s[26:27]
	s_cbranch_execnz .LBB6_316
	s_branch .LBB6_317
.LBB6_532:
	s_mov_b64 s[30:31], -1
	s_mov_b64 s[0:1], 0
	s_mov_b64 s[28:29], s[20:21]
                                        ; implicit-def: $vgpr2_vgpr3
	s_branch .LBB6_536
.LBB6_533:
	s_andn2_saveexec_b64 s[28:29], s[28:29]
	s_cbranch_execz .LBB6_328
.LBB6_534:
	s_mov_b32 s34, 0x42800000
	v_add_f32_e64 v3, |v2|, s34
	v_and_b32_e32 v3, 0xff, v3
	v_cmp_ne_u32_e32 vcc, 0, v3
	s_andn2_b64 s[26:27], s[26:27], exec
	s_and_b64 s[34:35], vcc, exec
	s_or_b64 s[26:27], s[26:27], s[34:35]
	s_or_b64 exec, exec, s[28:29]
	v_mov_b32_e32 v6, 0
	s_and_saveexec_b64 s[28:29], s[26:27]
	s_cbranch_execnz .LBB6_329
	s_branch .LBB6_330
.LBB6_535:
	s_mov_b64 s[28:29], -1
                                        ; implicit-def: $vgpr2_vgpr3
	s_mov_b64 s[0:1], 0
.LBB6_536:
	s_and_b64 vcc, exec, s[30:31]
	s_cbranch_vccz .LBB6_540
; %bb.537:
	s_cmp_eq_u32 s36, 44
	s_cbranch_scc0 .LBB6_539
; %bb.538:
	global_load_ubyte v4, v[0:1], off
	s_movk_i32 s28, 0xff
	v_bfrev_b32_e32 v5, 4
	v_mov_b32_e32 v6, 0x7ff80000
	v_bfrev_b32_e32 v7, 28
	s_mov_b64 s[0:1], -1
	s_waitcnt vmcnt(0)
	v_lshlrev_b32_e32 v2, 23, v4
	v_cvt_f64_f32_e32 v[2:3], v2
	v_cmp_ne_u32_e32 vcc, s28, v4
	s_mov_b64 s[28:29], 0
	v_cndmask_b32_e32 v2, v5, v2, vcc
	v_cndmask_b32_e32 v3, v6, v3, vcc
	v_cmp_ne_u32_e32 vcc, 0, v4
	v_cndmask_b32_e32 v3, v7, v3, vcc
	v_cndmask_b32_e32 v2, 0, v2, vcc
	s_branch .LBB6_540
.LBB6_539:
	s_mov_b64 s[28:29], -1
                                        ; implicit-def: $vgpr2_vgpr3
.LBB6_540:
	s_mov_b64 s[30:31], 0
.LBB6_541:
	s_and_b64 vcc, exec, s[30:31]
	s_cbranch_vccz .LBB6_545
; %bb.542:
	s_cmp_eq_u32 s36, 29
	s_cbranch_scc0 .LBB6_544
; %bb.543:
	global_load_dwordx2 v[2:3], v[0:1], off
	s_mov_b64 s[0:1], -1
	s_mov_b64 s[28:29], 0
	s_mov_b64 s[30:31], 0
	s_waitcnt vmcnt(0)
	v_cvt_f64_u32_e32 v[3:4], v3
	v_cvt_f64_u32_e32 v[5:6], v2
	v_ldexp_f64 v[3:4], v[3:4], 32
	v_add_f64 v[2:3], v[3:4], v[5:6]
	s_branch .LBB6_546
.LBB6_544:
	s_mov_b64 s[28:29], -1
                                        ; implicit-def: $vgpr2_vgpr3
.LBB6_545:
	s_mov_b64 s[30:31], 0
.LBB6_546:
	s_and_b64 vcc, exec, s[30:31]
	s_cbranch_vccz .LBB6_566
; %bb.547:
	s_cmp_lt_i32 s36, 27
	s_cbranch_scc1 .LBB6_550
; %bb.548:
	s_cmp_gt_i32 s36, 27
	s_cbranch_scc0 .LBB6_551
; %bb.549:
	global_load_dword v2, v[0:1], off
	s_mov_b64 s[0:1], 0
	s_waitcnt vmcnt(0)
	v_cvt_f64_u32_e32 v[2:3], v2
	s_branch .LBB6_552
.LBB6_550:
	s_mov_b64 s[0:1], -1
                                        ; implicit-def: $vgpr2_vgpr3
	s_branch .LBB6_555
.LBB6_551:
	s_mov_b64 s[0:1], -1
                                        ; implicit-def: $vgpr2_vgpr3
.LBB6_552:
	s_andn2_b64 vcc, exec, s[0:1]
	s_cbranch_vccnz .LBB6_554
; %bb.553:
	global_load_ushort v2, v[0:1], off
	s_waitcnt vmcnt(0)
	v_cvt_f64_u32_e32 v[2:3], v2
.LBB6_554:
	s_mov_b64 s[0:1], 0
.LBB6_555:
	s_andn2_b64 vcc, exec, s[0:1]
	s_cbranch_vccnz .LBB6_565
; %bb.556:
	global_load_ubyte v4, v[0:1], off
	s_movk_i32 s0, 0x7f
	s_waitcnt vmcnt(0)
	v_cmp_lt_i16_e32 vcc, s0, v4
	s_mov_b64 s[0:1], 0
	s_and_saveexec_b64 s[30:31], vcc
	s_xor_b64 s[30:31], exec, s[30:31]
	s_cbranch_execz .LBB6_560
; %bb.557:
	s_movk_i32 s0, 0x80
	v_cmp_eq_u16_e32 vcc, s0, v4
	s_mov_b64 s[0:1], -1
	s_and_saveexec_b64 s[34:35], vcc
; %bb.558:
	s_xor_b64 s[0:1], exec, -1
; %bb.559:
	s_or_b64 exec, exec, s[34:35]
	s_and_b64 s[0:1], s[0:1], exec
.LBB6_560:
	s_or_saveexec_b64 s[30:31], s[30:31]
	v_bfrev_b32_e32 v2, 4
	v_mov_b32_e32 v3, 0x7ff80000
	s_xor_b64 exec, exec, s[30:31]
; %bb.561:
	v_cmp_ne_u16_e32 vcc, 0, v4
	v_mov_b32_e32 v2, 0
	s_andn2_b64 s[0:1], s[0:1], exec
	s_and_b64 s[34:35], vcc, exec
	v_mov_b32_e32 v3, 0
	s_or_b64 s[0:1], s[0:1], s[34:35]
; %bb.562:
	s_or_b64 exec, exec, s[30:31]
	s_and_saveexec_b64 s[30:31], s[0:1]
	s_cbranch_execz .LBB6_564
; %bb.563:
	v_and_b32_e32 v3, 0xffff, v4
	v_lshlrev_b32_e32 v2, 24, v4
	v_and_b32_e32 v4, 7, v3
	v_ffbh_u32_e32 v6, v4
	v_min_u32_e32 v6, 32, v6
	v_subrev_u32_e32 v7, 28, v6
	v_bfe_u32 v5, v3, 3, 4
	v_lshlrev_b32_e32 v3, v7, v3
	v_sub_u32_e32 v6, 29, v6
	v_and_b32_e32 v3, 7, v3
	v_cmp_eq_u32_e32 vcc, 0, v5
	v_cndmask_b32_e32 v5, v5, v6, vcc
	v_cndmask_b32_e32 v3, v4, v3, vcc
	v_mov_b32_e32 v4, 0x3b800000
	v_lshlrev_b32_e32 v3, 20, v3
	v_and_b32_e32 v2, 0x80000000, v2
	v_lshl_add_u32 v4, v5, 23, v4
	v_or3_b32 v2, v2, v4, v3
	v_cvt_f64_f32_e32 v[2:3], v2
.LBB6_564:
	s_or_b64 exec, exec, s[30:31]
.LBB6_565:
	s_mov_b64 s[0:1], -1
.LBB6_566:
	s_mov_b64 s[30:31], 0
.LBB6_567:
	s_and_b64 vcc, exec, s[30:31]
	s_cbranch_vccz .LBB6_600
; %bb.568:
	s_cmp_gt_i32 s36, 22
	s_cbranch_scc0 .LBB6_580
; %bb.569:
	s_cmp_lt_i32 s36, 24
	s_cbranch_scc1 .LBB6_581
; %bb.570:
	s_cmp_gt_i32 s36, 24
	s_cbranch_scc0 .LBB6_582
; %bb.571:
	global_load_ubyte v4, v[0:1], off
	s_movk_i32 s0, 0x7f
	s_waitcnt vmcnt(0)
	v_cmp_lt_i16_e32 vcc, s0, v4
	s_mov_b64 s[0:1], 0
	s_and_saveexec_b64 s[30:31], vcc
	s_xor_b64 s[30:31], exec, s[30:31]
	s_cbranch_execz .LBB6_575
; %bb.572:
	s_movk_i32 s0, 0x80
	v_cmp_eq_u16_e32 vcc, s0, v4
	s_mov_b64 s[0:1], -1
	s_and_saveexec_b64 s[34:35], vcc
; %bb.573:
	s_xor_b64 s[0:1], exec, -1
; %bb.574:
	s_or_b64 exec, exec, s[34:35]
	s_and_b64 s[0:1], s[0:1], exec
.LBB6_575:
	s_or_saveexec_b64 s[30:31], s[30:31]
	v_bfrev_b32_e32 v2, 4
	v_mov_b32_e32 v3, 0x7ff80000
	s_xor_b64 exec, exec, s[30:31]
; %bb.576:
	v_cmp_ne_u16_e32 vcc, 0, v4
	v_mov_b32_e32 v2, 0
	s_andn2_b64 s[0:1], s[0:1], exec
	s_and_b64 s[34:35], vcc, exec
	v_mov_b32_e32 v3, 0
	s_or_b64 s[0:1], s[0:1], s[34:35]
; %bb.577:
	s_or_b64 exec, exec, s[30:31]
	s_and_saveexec_b64 s[30:31], s[0:1]
	s_cbranch_execz .LBB6_579
; %bb.578:
	v_and_b32_e32 v3, 0xffff, v4
	v_lshlrev_b32_e32 v2, 24, v4
	v_and_b32_e32 v4, 3, v3
	v_ffbh_u32_e32 v6, v4
	v_min_u32_e32 v6, 32, v6
	v_subrev_u32_e32 v7, 29, v6
	v_bfe_u32 v5, v3, 2, 5
	v_lshlrev_b32_e32 v3, v7, v3
	v_sub_u32_e32 v6, 30, v6
	v_and_b32_e32 v3, 3, v3
	v_cmp_eq_u32_e32 vcc, 0, v5
	v_cndmask_b32_e32 v5, v5, v6, vcc
	v_cndmask_b32_e32 v3, v4, v3, vcc
	v_mov_b32_e32 v4, 0x37800000
	v_lshlrev_b32_e32 v3, 21, v3
	v_and_b32_e32 v2, 0x80000000, v2
	v_lshl_add_u32 v4, v5, 23, v4
	v_or3_b32 v2, v2, v4, v3
	v_cvt_f64_f32_e32 v[2:3], v2
.LBB6_579:
	s_or_b64 exec, exec, s[30:31]
	s_mov_b64 s[0:1], 0
	s_branch .LBB6_583
.LBB6_580:
	s_mov_b64 s[30:31], -1
                                        ; implicit-def: $vgpr2_vgpr3
	s_branch .LBB6_589
.LBB6_581:
	s_mov_b64 s[0:1], -1
                                        ; implicit-def: $vgpr2_vgpr3
	s_branch .LBB6_586
.LBB6_582:
	s_mov_b64 s[0:1], -1
                                        ; implicit-def: $vgpr2_vgpr3
.LBB6_583:
	s_and_b64 vcc, exec, s[0:1]
	s_cbranch_vccz .LBB6_585
; %bb.584:
	global_load_ubyte v2, v[0:1], off
	s_mov_b32 s0, 0x7f800000
	s_waitcnt vmcnt(0)
	v_lshlrev_b32_e32 v2, 24, v2
	v_and_b32_e32 v3, 0x7f000000, v2
	v_ffbh_u32_e32 v4, v3
	v_min_u32_e32 v4, 32, v4
	v_sub_u32_e64 v4, v4, 4 clamp
	v_lshlrev_b32_e32 v6, v4, v3
	v_lshlrev_b32_e32 v4, 23, v4
	v_lshrrev_b32_e32 v6, 4, v6
	v_add_u32_e32 v5, 0x1000000, v3
	v_sub_u32_e32 v4, v6, v4
	v_ashrrev_i32_e32 v5, 8, v5
	v_add_u32_e32 v4, 0x3c000000, v4
	v_and_or_b32 v4, v5, s0, v4
	v_cmp_ne_u32_e32 vcc, 0, v3
	v_cndmask_b32_e32 v3, 0, v4, vcc
	s_brev_b32 s0, 1
	v_and_or_b32 v2, v2, s0, v3
	v_cvt_f64_f32_e32 v[2:3], v2
.LBB6_585:
	s_mov_b64 s[0:1], 0
.LBB6_586:
	s_andn2_b64 vcc, exec, s[0:1]
	s_cbranch_vccnz .LBB6_588
; %bb.587:
	global_load_ubyte v2, v[0:1], off
	s_movk_i32 s0, 0x7f00
	s_brev_b32 s1, 16
	s_waitcnt vmcnt(0)
	v_lshlrev_b16_e32 v3, 8, v2
	v_lshlrev_b32_e32 v2, 25, v2
	v_lshrrev_b32_e32 v4, 4, v2
	v_and_or_b32 v5, v3, s0, 0.5
	v_or_b32_e32 v4, 0x70000000, v4
	v_add_f32_e32 v5, -0.5, v5
	v_mul_f32_e32 v4, 0x7800000, v4
	v_cmp_gt_u32_e32 vcc, s1, v2
	v_bfe_i32 v3, v3, 0, 16
	v_cndmask_b32_e32 v2, v4, v5, vcc
	s_brev_b32 s0, 1
	v_and_or_b32 v2, v3, s0, v2
	v_cvt_f64_f32_e32 v[2:3], v2
.LBB6_588:
	s_mov_b64 s[30:31], 0
	s_mov_b64 s[0:1], -1
.LBB6_589:
	s_andn2_b64 vcc, exec, s[30:31]
	s_cbranch_vccnz .LBB6_600
; %bb.590:
	s_cmp_gt_i32 s36, 14
	s_cbranch_scc0 .LBB6_593
; %bb.591:
	s_cmp_eq_u32 s36, 15
	s_cbranch_scc0 .LBB6_594
; %bb.592:
	global_load_ushort v2, v[0:1], off
	s_mov_b64 s[0:1], -1
	s_mov_b64 s[28:29], 0
	s_waitcnt vmcnt(0)
	v_lshlrev_b32_e32 v2, 16, v2
	v_cvt_f64_f32_e32 v[2:3], v2
	s_branch .LBB6_595
.LBB6_593:
	s_mov_b64 s[30:31], -1
                                        ; implicit-def: $vgpr2_vgpr3
	s_branch .LBB6_596
.LBB6_594:
	s_mov_b64 s[28:29], -1
                                        ; implicit-def: $vgpr2_vgpr3
.LBB6_595:
	s_mov_b64 s[30:31], 0
.LBB6_596:
	s_and_b64 vcc, exec, s[30:31]
	s_cbranch_vccz .LBB6_600
; %bb.597:
	s_cmp_eq_u32 s36, 11
	s_cbranch_scc0 .LBB6_599
; %bb.598:
	global_load_ubyte v3, v[0:1], off
	v_mov_b32_e32 v4, 0x3ff00000
	v_mov_b32_e32 v2, 0
	s_mov_b64 s[0:1], -1
	s_mov_b64 s[28:29], 0
	s_waitcnt vmcnt(0)
	v_cmp_ne_u16_e32 vcc, 0, v3
	v_cndmask_b32_e32 v3, 0, v4, vcc
	s_branch .LBB6_600
.LBB6_599:
	s_mov_b64 s[28:29], -1
                                        ; implicit-def: $vgpr2_vgpr3
.LBB6_600:
	s_mov_b64 s[30:31], 0
.LBB6_601:
	s_and_b64 vcc, exec, s[30:31]
	s_cbranch_vccz .LBB6_650
; %bb.602:
	s_cmp_lt_i32 s36, 5
	s_cbranch_scc1 .LBB6_607
; %bb.603:
	s_cmp_lt_i32 s36, 8
	s_cbranch_scc1 .LBB6_608
	;; [unrolled: 3-line block ×3, first 2 shown]
; %bb.605:
	s_cmp_gt_i32 s36, 9
	s_cbranch_scc0 .LBB6_610
; %bb.606:
	global_load_dwordx2 v[2:3], v[0:1], off
	s_mov_b64 s[0:1], 0
	s_branch .LBB6_611
.LBB6_607:
	s_mov_b64 s[0:1], -1
                                        ; implicit-def: $vgpr2_vgpr3
	s_branch .LBB6_629
.LBB6_608:
	s_mov_b64 s[0:1], -1
                                        ; implicit-def: $vgpr2_vgpr3
	s_branch .LBB6_617
.LBB6_609:
	s_mov_b64 s[0:1], -1
                                        ; implicit-def: $vgpr2_vgpr3
	s_branch .LBB6_614
.LBB6_610:
	s_mov_b64 s[0:1], -1
                                        ; implicit-def: $vgpr2_vgpr3
.LBB6_611:
	s_andn2_b64 vcc, exec, s[0:1]
	s_cbranch_vccnz .LBB6_613
; %bb.612:
	global_load_dword v2, v[0:1], off
	s_waitcnt vmcnt(0)
	v_cvt_f64_f32_e32 v[2:3], v2
.LBB6_613:
	s_mov_b64 s[0:1], 0
.LBB6_614:
	s_andn2_b64 vcc, exec, s[0:1]
	s_cbranch_vccnz .LBB6_616
; %bb.615:
	global_load_dword v2, v[0:1], off
	s_waitcnt vmcnt(0)
	v_cvt_f32_f16_e32 v2, v2
	v_cvt_f64_f32_e32 v[2:3], v2
.LBB6_616:
	s_mov_b64 s[0:1], 0
.LBB6_617:
	s_andn2_b64 vcc, exec, s[0:1]
	s_cbranch_vccnz .LBB6_628
; %bb.618:
	s_cmp_lt_i32 s36, 6
	s_cbranch_scc1 .LBB6_621
; %bb.619:
	s_cmp_gt_i32 s36, 6
	s_cbranch_scc0 .LBB6_622
; %bb.620:
	global_load_dwordx2 v[2:3], v[0:1], off
	s_mov_b64 s[0:1], 0
	s_branch .LBB6_623
.LBB6_621:
	s_mov_b64 s[0:1], -1
                                        ; implicit-def: $vgpr2_vgpr3
	s_branch .LBB6_626
.LBB6_622:
	s_mov_b64 s[0:1], -1
                                        ; implicit-def: $vgpr2_vgpr3
.LBB6_623:
	s_andn2_b64 vcc, exec, s[0:1]
	s_cbranch_vccnz .LBB6_625
; %bb.624:
	global_load_dword v2, v[0:1], off
	s_waitcnt vmcnt(0)
	v_cvt_f64_f32_e32 v[2:3], v2
.LBB6_625:
	s_mov_b64 s[0:1], 0
.LBB6_626:
	s_andn2_b64 vcc, exec, s[0:1]
	s_cbranch_vccnz .LBB6_628
; %bb.627:
	global_load_ushort v2, v[0:1], off
	s_waitcnt vmcnt(0)
	v_cvt_f32_f16_e32 v2, v2
	v_cvt_f64_f32_e32 v[2:3], v2
.LBB6_628:
	s_mov_b64 s[0:1], 0
.LBB6_629:
	s_andn2_b64 vcc, exec, s[0:1]
	s_cbranch_vccnz .LBB6_649
; %bb.630:
	s_cmp_lt_i32 s36, 2
	s_cbranch_scc1 .LBB6_634
; %bb.631:
	s_cmp_lt_i32 s36, 3
	s_cbranch_scc1 .LBB6_635
; %bb.632:
	s_cmp_gt_i32 s36, 3
	s_cbranch_scc0 .LBB6_636
; %bb.633:
	global_load_dwordx2 v[2:3], v[0:1], off
	s_mov_b64 s[0:1], 0
	s_waitcnt vmcnt(0)
	v_cvt_f64_i32_e32 v[3:4], v3
	v_cvt_f64_u32_e32 v[5:6], v2
	v_ldexp_f64 v[3:4], v[3:4], 32
	v_add_f64 v[2:3], v[3:4], v[5:6]
	s_branch .LBB6_637
.LBB6_634:
	s_mov_b64 s[0:1], -1
                                        ; implicit-def: $vgpr2_vgpr3
	s_branch .LBB6_643
.LBB6_635:
	s_mov_b64 s[0:1], -1
                                        ; implicit-def: $vgpr2_vgpr3
	s_branch .LBB6_640
.LBB6_636:
	s_mov_b64 s[0:1], -1
                                        ; implicit-def: $vgpr2_vgpr3
.LBB6_637:
	s_andn2_b64 vcc, exec, s[0:1]
	s_cbranch_vccnz .LBB6_639
; %bb.638:
	global_load_dword v2, v[0:1], off
	s_waitcnt vmcnt(0)
	v_cvt_f64_i32_e32 v[2:3], v2
.LBB6_639:
	s_mov_b64 s[0:1], 0
.LBB6_640:
	s_andn2_b64 vcc, exec, s[0:1]
	s_cbranch_vccnz .LBB6_642
; %bb.641:
	global_load_sshort v2, v[0:1], off
	s_waitcnt vmcnt(0)
	v_cvt_f64_i32_e32 v[2:3], v2
.LBB6_642:
	s_mov_b64 s[0:1], 0
.LBB6_643:
	s_andn2_b64 vcc, exec, s[0:1]
	s_cbranch_vccnz .LBB6_649
; %bb.644:
	s_cmp_gt_i32 s36, 0
	s_cbranch_scc0 .LBB6_646
; %bb.645:
	global_load_sbyte v2, v[0:1], off
	s_mov_b64 s[0:1], 0
	s_waitcnt vmcnt(0)
	v_cvt_f64_i32_e32 v[2:3], v2
	s_branch .LBB6_647
.LBB6_646:
	s_mov_b64 s[0:1], -1
                                        ; implicit-def: $vgpr2_vgpr3
.LBB6_647:
	s_andn2_b64 vcc, exec, s[0:1]
	s_cbranch_vccnz .LBB6_649
; %bb.648:
	global_load_ubyte v0, v[0:1], off
	s_waitcnt vmcnt(0)
	v_cvt_f64_u32_e32 v[2:3], v0
.LBB6_649:
	s_mov_b64 s[0:1], -1
.LBB6_650:
	s_andn2_b64 vcc, exec, s[0:1]
	s_cbranch_vccnz .LBB6_660
; %bb.651:
	s_waitcnt vmcnt(0)
	v_cmp_lt_f64_e32 vcc, s[14:15], v[2:3]
	v_mov_b32_e32 v0, 0
	v_mov_b32_e32 v1, 0x3ff00000
	s_and_saveexec_b64 s[0:1], vcc
	s_cbranch_execz .LBB6_653
; %bb.652:
	s_mov_b32 s30, 0x9abcaf48
	s_mov_b32 s31, 0x3e7ad7f2
	v_add_f64 v[0:1], v[2:3], s[30:31]
	v_div_scale_f64 v[2:3], s[30:31], v[0:1], v[0:1], s[14:15]
	v_div_scale_f64 v[8:9], vcc, s[14:15], v[0:1], s[14:15]
	v_rcp_f64_e32 v[4:5], v[2:3]
	v_fma_f64 v[6:7], -v[2:3], v[4:5], 1.0
	v_fma_f64 v[4:5], v[4:5], v[6:7], v[4:5]
	v_fma_f64 v[6:7], -v[2:3], v[4:5], 1.0
	v_fma_f64 v[4:5], v[4:5], v[6:7], v[4:5]
	v_mul_f64 v[6:7], v[8:9], v[4:5]
	v_fma_f64 v[2:3], -v[2:3], v[6:7], v[8:9]
	v_div_fmas_f64 v[2:3], v[2:3], v[4:5], v[6:7]
	v_div_fixup_f64 v[0:1], v[2:3], v[0:1], s[14:15]
.LBB6_653:
	s_or_b64 exec, exec, s[0:1]
	v_mul_lo_u32 v2, v10, s12
	v_mov_b32_e32 v3, s9
	s_and_b32 s38, s33, 0xff
	s_cmp_lt_i32 s38, 11
	v_ashrrev_i32_e32 v5, 31, v2
	v_add_co_u32_e32 v4, vcc, s8, v2
	v_addc_co_u32_e32 v5, vcc, v3, v5, vcc
	s_cbranch_scc1 .LBB6_661
; %bb.654:
	s_and_b32 s39, 0xffff, s38
	s_cmp_gt_i32 s39, 25
	s_cbranch_scc0 .LBB6_662
; %bb.655:
	s_cmp_gt_i32 s39, 28
	s_cbranch_scc0 .LBB6_663
; %bb.656:
	;; [unrolled: 3-line block ×4, first 2 shown]
	s_mov_b64 s[34:35], 0
	s_mov_b64 s[0:1], -1
	s_cmp_eq_u32 s39, 46
	s_mov_b64 s[30:31], 0
	s_cbranch_scc0 .LBB6_666
; %bb.659:
	v_cvt_f32_f64_e32 v2, v[0:1]
	s_movk_i32 s0, 0x7fff
	v_mov_b32_e32 v3, 0x7fc0
	s_mov_b64 s[30:31], -1
	v_bfe_u32 v6, v2, 16, 1
	v_cmp_o_f32_e32 vcc, v2, v2
	v_add3_u32 v2, v2, v6, s0
	v_cndmask_b32_sdwa v2, v3, v2, vcc dst_sel:DWORD dst_unused:UNUSED_PAD src0_sel:DWORD src1_sel:WORD_1
	global_store_dword v[4:5], v2, off
	s_mov_b64 s[0:1], 0
	s_branch .LBB6_666
.LBB6_660:
	s_mov_b64 s[34:35], 0
                                        ; implicit-def: $vgpr10
	s_mov_b64 s[0:1], s[22:23]
	s_branch .LBB6_777
.LBB6_661:
	s_mov_b64 s[34:35], -1
	s_mov_b64 s[30:31], 0
	s_mov_b64 s[0:1], s[22:23]
	s_branch .LBB6_735
.LBB6_662:
	s_mov_b64 s[34:35], -1
	s_mov_b64 s[30:31], 0
	s_mov_b64 s[0:1], s[22:23]
	s_branch .LBB6_693
.LBB6_663:
	s_mov_b64 s[34:35], -1
	s_mov_b64 s[30:31], 0
	s_mov_b64 s[0:1], s[22:23]
	s_branch .LBB6_676
.LBB6_664:
	s_mov_b64 s[34:35], -1
	s_mov_b64 s[30:31], 0
	s_mov_b64 s[0:1], s[22:23]
	s_branch .LBB6_672
.LBB6_665:
	s_mov_b64 s[34:35], -1
	s_mov_b64 s[30:31], 0
	s_mov_b64 s[0:1], s[22:23]
.LBB6_666:
	s_and_b64 vcc, exec, s[34:35]
	s_cbranch_vccz .LBB6_671
; %bb.667:
	s_cmp_eq_u32 s39, 44
	s_mov_b64 s[0:1], -1
	s_cbranch_scc0 .LBB6_671
; %bb.668:
	v_cvt_f32_f64_e32 v2, v[0:1]
	s_movk_i32 s0, 0xff
	v_mov_b32_e32 v6, 0xff
	v_bfe_u32 v3, v2, 23, 8
	v_cmp_ne_u32_e32 vcc, s0, v3
	s_and_saveexec_b64 s[30:31], vcc
; %bb.669:
	s_mov_b32 s0, 0x3fffff
	v_lshrrev_b32_e32 v6, 23, v2
	v_and_b32_e32 v7, 0x400000, v2
	v_and_or_b32 v2, v2, s0, v3
	v_cmp_ne_u32_e32 vcc, 0, v7
	v_cmp_ne_u32_e64 s[0:1], 0, v2
	s_and_b64 s[0:1], vcc, s[0:1]
	v_cndmask_b32_e64 v2, 0, 1, s[0:1]
	v_add_u32_e32 v6, v6, v2
; %bb.670:
	s_or_b64 exec, exec, s[30:31]
	s_mov_b64 s[30:31], -1
	s_mov_b64 s[0:1], 0
	global_store_byte v[4:5], v6, off
.LBB6_671:
	s_mov_b64 s[34:35], 0
.LBB6_672:
	s_and_b64 vcc, exec, s[34:35]
	s_cbranch_vccz .LBB6_675
; %bb.673:
	s_cmp_eq_u32 s39, 29
	s_mov_b64 s[0:1], -1
	s_cbranch_scc0 .LBB6_675
; %bb.674:
	v_trunc_f64_e32 v[2:3], v[0:1]
	s_movk_i32 s0, 0xffe0
	s_mov_b64 s[30:31], -1
	s_mov_b64 s[34:35], 0
	v_ldexp_f64 v[6:7], v[2:3], s0
	s_mov_b32 s0, 0
	s_mov_b32 s1, 0xc1f00000
	v_floor_f64_e32 v[6:7], v[6:7]
	v_fma_f64 v[2:3], v[6:7], s[0:1], v[2:3]
	v_cvt_u32_f64_e32 v7, v[6:7]
	s_mov_b64 s[0:1], 0
	v_cvt_u32_f64_e32 v6, v[2:3]
	global_store_dwordx2 v[4:5], v[6:7], off
	s_branch .LBB6_676
.LBB6_675:
	s_mov_b64 s[34:35], 0
.LBB6_676:
	s_and_b64 vcc, exec, s[34:35]
	s_cbranch_vccz .LBB6_692
; %bb.677:
	s_cmp_lt_i32 s39, 27
	s_mov_b64 s[30:31], -1
	s_cbranch_scc1 .LBB6_683
; %bb.678:
	v_cvt_u32_f64_e32 v2, v[0:1]
	s_cmp_gt_i32 s39, 27
	s_cbranch_scc0 .LBB6_680
; %bb.679:
	s_mov_b64 s[30:31], 0
	global_store_dword v[4:5], v2, off
.LBB6_680:
	s_andn2_b64 vcc, exec, s[30:31]
	s_cbranch_vccnz .LBB6_682
; %bb.681:
	global_store_short v[4:5], v2, off
.LBB6_682:
	s_mov_b64 s[30:31], 0
.LBB6_683:
	s_andn2_b64 vcc, exec, s[30:31]
	s_cbranch_vccnz .LBB6_691
; %bb.684:
	v_cvt_f32_f64_e32 v2, v[0:1]
	s_mov_b32 s30, 0x43800000
	v_mov_b32_e32 v6, 0x80
	v_and_b32_e32 v3, 0x7fffffff, v2
	v_cmp_gt_u32_e32 vcc, s30, v3
	s_and_saveexec_b64 s[30:31], vcc
	s_cbranch_execz .LBB6_690
; %bb.685:
	s_mov_b32 s34, 0x3bffffff
	v_cmp_lt_u32_e32 vcc, s34, v3
	s_mov_b64 s[34:35], 0
                                        ; implicit-def: $vgpr3
	s_and_saveexec_b64 s[36:37], vcc
	s_xor_b64 s[36:37], exec, s[36:37]
	s_cbranch_execz .LBB6_791
; %bb.686:
	v_bfe_u32 v3, v2, 20, 1
	s_mov_b32 s41, 0x487ffff
	v_add3_u32 v3, v2, v3, s41
	s_mov_b64 s[34:35], exec
	v_lshrrev_b32_e32 v3, 20, v3
	s_andn2_saveexec_b64 s[36:37], s[36:37]
	s_cbranch_execnz .LBB6_792
.LBB6_687:
	s_or_b64 exec, exec, s[36:37]
	v_mov_b32_e32 v6, 0
	s_and_saveexec_b64 s[36:37], s[34:35]
.LBB6_688:
	v_lshrrev_b32_e32 v2, 24, v2
	s_movk_i32 s34, 0x80
	v_and_or_b32 v6, v2, s34, v3
.LBB6_689:
	s_or_b64 exec, exec, s[36:37]
.LBB6_690:
	s_or_b64 exec, exec, s[30:31]
	global_store_byte v[4:5], v6, off
.LBB6_691:
	s_mov_b64 s[30:31], -1
.LBB6_692:
	s_mov_b64 s[34:35], 0
.LBB6_693:
	s_and_b64 vcc, exec, s[34:35]
	s_cbranch_vccz .LBB6_734
; %bb.694:
	s_cmp_gt_i32 s39, 22
	s_mov_b64 s[34:35], -1
	s_cbranch_scc0 .LBB6_726
; %bb.695:
	s_cmp_lt_i32 s39, 24
	s_mov_b64 s[30:31], -1
	s_cbranch_scc1 .LBB6_715
; %bb.696:
	s_cmp_gt_i32 s39, 24
	s_cbranch_scc0 .LBB6_704
; %bb.697:
	v_cvt_f32_f64_e32 v2, v[0:1]
	s_mov_b32 s30, 0x47800000
	v_mov_b32_e32 v6, 0x80
	v_and_b32_e32 v3, 0x7fffffff, v2
	v_cmp_gt_u32_e32 vcc, s30, v3
	s_and_saveexec_b64 s[30:31], vcc
	s_cbranch_execz .LBB6_703
; %bb.698:
	s_mov_b32 s34, 0x37ffffff
	v_cmp_lt_u32_e32 vcc, s34, v3
	s_mov_b64 s[34:35], 0
                                        ; implicit-def: $vgpr3
	s_and_saveexec_b64 s[36:37], vcc
	s_xor_b64 s[36:37], exec, s[36:37]
	s_cbranch_execz .LBB6_794
; %bb.699:
	v_bfe_u32 v3, v2, 21, 1
	s_mov_b32 s41, 0x88fffff
	v_add3_u32 v3, v2, v3, s41
	s_mov_b64 s[34:35], exec
	v_lshrrev_b32_e32 v3, 21, v3
	s_andn2_saveexec_b64 s[36:37], s[36:37]
	s_cbranch_execnz .LBB6_795
.LBB6_700:
	s_or_b64 exec, exec, s[36:37]
	v_mov_b32_e32 v6, 0
	s_and_saveexec_b64 s[36:37], s[34:35]
.LBB6_701:
	v_lshrrev_b32_e32 v2, 24, v2
	s_movk_i32 s34, 0x80
	v_and_or_b32 v6, v2, s34, v3
.LBB6_702:
	s_or_b64 exec, exec, s[36:37]
.LBB6_703:
	s_or_b64 exec, exec, s[30:31]
	s_mov_b64 s[30:31], 0
	global_store_byte v[4:5], v6, off
.LBB6_704:
	s_and_b64 vcc, exec, s[30:31]
	s_cbranch_vccz .LBB6_714
; %bb.705:
	v_cvt_f32_f64_e32 v2, v[0:1]
	s_mov_b32 s30, 0x43f00000
                                        ; implicit-def: $vgpr3
	v_and_b32_e32 v6, 0x7fffffff, v2
	v_cmp_gt_u32_e32 vcc, s30, v6
	s_and_saveexec_b64 s[30:31], vcc
	s_xor_b64 s[30:31], exec, s[30:31]
	s_cbranch_execz .LBB6_711
; %bb.706:
	s_mov_b32 s34, 0x3c7fffff
	v_cmp_lt_u32_e32 vcc, s34, v6
                                        ; implicit-def: $vgpr3
	s_and_saveexec_b64 s[34:35], vcc
	s_xor_b64 s[34:35], exec, s[34:35]
; %bb.707:
	v_bfe_u32 v3, v2, 20, 1
	s_mov_b32 s36, 0x407ffff
	v_add3_u32 v3, v2, v3, s36
	v_lshrrev_b32_e32 v6, 20, v3
	v_and_b32_e32 v3, 0xff00000, v3
	s_mov_b32 s36, 0x7f00000
	v_mov_b32_e32 v7, 0x7e
	v_cmp_ne_u32_e32 vcc, s36, v3
	v_cndmask_b32_e32 v3, v7, v6, vcc
; %bb.708:
	s_andn2_saveexec_b64 s[34:35], s[34:35]
; %bb.709:
	s_mov_b32 s36, 0x46800000
	v_add_f32_e64 v3, |v2|, s36
; %bb.710:
	s_or_b64 exec, exec, s[34:35]
                                        ; implicit-def: $vgpr6
.LBB6_711:
	s_andn2_saveexec_b64 s[30:31], s[30:31]
; %bb.712:
	s_mov_b32 s34, 0x7f800000
	v_mov_b32_e32 v3, 0x7e
	v_mov_b32_e32 v7, 0x7f
	v_cmp_lt_u32_e32 vcc, s34, v6
	v_cndmask_b32_e32 v3, v3, v7, vcc
; %bb.713:
	s_or_b64 exec, exec, s[30:31]
	v_lshrrev_b32_e32 v2, 24, v2
	s_movk_i32 s30, 0x80
	v_and_or_b32 v2, v2, s30, v3
	global_store_byte v[4:5], v2, off
.LBB6_714:
	s_mov_b64 s[30:31], 0
.LBB6_715:
	s_andn2_b64 vcc, exec, s[30:31]
	s_cbranch_vccnz .LBB6_725
; %bb.716:
	v_cvt_f32_f64_e32 v2, v[0:1]
	s_mov_b32 s30, 0x47800000
                                        ; implicit-def: $vgpr3
	v_and_b32_e32 v6, 0x7fffffff, v2
	v_cmp_gt_u32_e32 vcc, s30, v6
	s_and_saveexec_b64 s[30:31], vcc
	s_xor_b64 s[30:31], exec, s[30:31]
	s_cbranch_execz .LBB6_722
; %bb.717:
	s_mov_b32 s34, 0x387fffff
	v_cmp_lt_u32_e32 vcc, s34, v6
                                        ; implicit-def: $vgpr3
	s_and_saveexec_b64 s[34:35], vcc
	s_xor_b64 s[34:35], exec, s[34:35]
; %bb.718:
	v_bfe_u32 v3, v2, 21, 1
	s_mov_b32 s36, 0x80fffff
	v_add3_u32 v3, v2, v3, s36
	v_lshrrev_b32_e32 v3, 21, v3
; %bb.719:
	s_andn2_saveexec_b64 s[34:35], s[34:35]
; %bb.720:
	s_mov_b32 s36, 0x43000000
	v_add_f32_e64 v3, |v2|, s36
; %bb.721:
	s_or_b64 exec, exec, s[34:35]
                                        ; implicit-def: $vgpr6
.LBB6_722:
	s_andn2_saveexec_b64 s[30:31], s[30:31]
; %bb.723:
	s_mov_b32 s34, 0x7f800000
	v_mov_b32_e32 v3, 0x7c
	v_mov_b32_e32 v7, 0x7f
	v_cmp_lt_u32_e32 vcc, s34, v6
	v_cndmask_b32_e32 v3, v3, v7, vcc
; %bb.724:
	s_or_b64 exec, exec, s[30:31]
	v_lshrrev_b32_e32 v2, 24, v2
	s_movk_i32 s30, 0x80
	v_and_or_b32 v2, v2, s30, v3
	global_store_byte v[4:5], v2, off
.LBB6_725:
	s_mov_b64 s[34:35], 0
	s_mov_b64 s[30:31], -1
.LBB6_726:
	s_andn2_b64 vcc, exec, s[34:35]
	s_cbranch_vccnz .LBB6_734
; %bb.727:
	s_cmp_gt_i32 s39, 14
	s_mov_b64 s[34:35], -1
	s_cbranch_scc0 .LBB6_731
; %bb.728:
	s_cmp_eq_u32 s39, 15
	s_mov_b64 s[0:1], -1
	s_cbranch_scc0 .LBB6_730
; %bb.729:
	v_cvt_f32_f64_e32 v2, v[0:1]
	s_movk_i32 s0, 0x7fff
	v_mov_b32_e32 v3, 0x7fc0
	s_mov_b64 s[30:31], -1
	v_bfe_u32 v6, v2, 16, 1
	v_cmp_o_f32_e32 vcc, v2, v2
	v_add3_u32 v2, v2, v6, s0
	v_cndmask_b32_sdwa v2, v3, v2, vcc dst_sel:DWORD dst_unused:UNUSED_PAD src0_sel:DWORD src1_sel:WORD_1
	global_store_short v[4:5], v2, off
	s_mov_b64 s[0:1], 0
.LBB6_730:
	s_mov_b64 s[34:35], 0
.LBB6_731:
	s_and_b64 vcc, exec, s[34:35]
	s_cbranch_vccz .LBB6_734
; %bb.732:
	s_cmp_eq_u32 s39, 11
	s_mov_b64 s[0:1], -1
	s_cbranch_scc0 .LBB6_734
; %bb.733:
	v_cmp_neq_f64_e32 vcc, 0, v[0:1]
	s_mov_b64 s[0:1], 0
	s_mov_b64 s[30:31], -1
	v_cndmask_b32_e64 v2, 0, 1, vcc
	global_store_byte v[4:5], v2, off
.LBB6_734:
	s_mov_b64 s[34:35], 0
.LBB6_735:
	s_and_b64 vcc, exec, s[34:35]
	s_cbranch_vccz .LBB6_774
; %bb.736:
	s_and_b32 s34, 0xffff, s38
	s_cmp_lt_i32 s34, 5
	s_mov_b64 s[30:31], -1
	s_cbranch_scc1 .LBB6_757
; %bb.737:
	s_cmp_lt_i32 s34, 8
	s_cbranch_scc1 .LBB6_747
; %bb.738:
	s_cmp_lt_i32 s34, 9
	s_cbranch_scc1 .LBB6_744
; %bb.739:
	s_cmp_gt_i32 s34, 9
	s_cbranch_scc0 .LBB6_741
; %bb.740:
	v_mov_b32_e32 v2, 0
	v_mov_b32_e32 v3, v2
	s_mov_b64 s[30:31], 0
	global_store_dwordx4 v[4:5], v[0:3], off
.LBB6_741:
	s_andn2_b64 vcc, exec, s[30:31]
	s_cbranch_vccnz .LBB6_743
; %bb.742:
	v_cvt_f32_f64_e32 v2, v[0:1]
	v_mov_b32_e32 v3, 0
	global_store_dwordx2 v[4:5], v[2:3], off
.LBB6_743:
	s_mov_b64 s[30:31], 0
.LBB6_744:
	s_andn2_b64 vcc, exec, s[30:31]
	s_cbranch_vccnz .LBB6_746
; %bb.745:
	s_movk_i32 s30, 0x1ff
	v_and_or_b32 v2, v1, s30, v0
	v_cmp_ne_u32_e32 vcc, 0, v2
	v_cndmask_b32_e64 v2, 0, 1, vcc
	v_lshrrev_b32_e32 v3, 8, v1
	s_movk_i32 s30, 0xffe
	v_bfe_u32 v6, v1, 20, 11
	v_and_or_b32 v2, v3, s30, v2
	v_sub_u32_e32 v7, 0x3f1, v6
	v_or_b32_e32 v3, 0x1000, v2
	v_med3_i32 v7, v7, 0, 13
	v_lshrrev_b32_e32 v8, v7, v3
	v_lshlrev_b32_e32 v7, v7, v8
	v_cmp_ne_u32_e32 vcc, v7, v3
	v_cndmask_b32_e64 v3, 0, 1, vcc
	v_add_u32_e32 v6, 0xfffffc10, v6
	v_or_b32_e32 v3, v8, v3
	v_lshl_or_b32 v7, v6, 12, v2
	v_cmp_gt_i32_e32 vcc, 1, v6
	v_cndmask_b32_e32 v3, v7, v3, vcc
	v_and_b32_e32 v7, 7, v3
	v_cmp_lt_i32_e32 vcc, 5, v7
	v_cndmask_b32_e64 v8, 0, 1, vcc
	v_cmp_eq_u32_e32 vcc, 3, v7
	v_cndmask_b32_e64 v7, 0, 1, vcc
	v_or_b32_e32 v7, v7, v8
	v_lshrrev_b32_e32 v3, 2, v3
	v_add_u32_e32 v3, v3, v7
	v_mov_b32_e32 v7, 0x7c00
	v_cmp_gt_i32_e32 vcc, 31, v6
	v_cndmask_b32_e32 v3, v7, v3, vcc
	v_mov_b32_e32 v8, 0x7e00
	v_cmp_ne_u32_e32 vcc, 0, v2
	s_movk_i32 s30, 0x40f
	v_cndmask_b32_e32 v2, v7, v8, vcc
	v_cmp_eq_u32_e32 vcc, s30, v6
	v_cndmask_b32_e32 v2, v3, v2, vcc
	v_lshrrev_b32_e32 v3, 16, v1
	s_mov_b32 s30, 0x8000
	v_and_or_b32 v2, v3, s30, v2
	v_and_b32_e32 v2, 0xffff, v2
	global_store_dword v[4:5], v2, off
.LBB6_746:
	s_mov_b64 s[30:31], 0
.LBB6_747:
	s_andn2_b64 vcc, exec, s[30:31]
	s_cbranch_vccnz .LBB6_756
; %bb.748:
	s_cmp_lt_i32 s34, 6
	s_mov_b64 s[30:31], -1
	s_cbranch_scc1 .LBB6_754
; %bb.749:
	s_cmp_gt_i32 s34, 6
	s_cbranch_scc0 .LBB6_751
; %bb.750:
	s_mov_b64 s[30:31], 0
	global_store_dwordx2 v[4:5], v[0:1], off
.LBB6_751:
	s_andn2_b64 vcc, exec, s[30:31]
	s_cbranch_vccnz .LBB6_753
; %bb.752:
	v_cvt_f32_f64_e32 v2, v[0:1]
	global_store_dword v[4:5], v2, off
.LBB6_753:
	s_mov_b64 s[30:31], 0
.LBB6_754:
	s_andn2_b64 vcc, exec, s[30:31]
	s_cbranch_vccnz .LBB6_756
; %bb.755:
	s_movk_i32 s30, 0x1ff
	v_and_or_b32 v2, v1, s30, v0
	v_cmp_ne_u32_e32 vcc, 0, v2
	v_cndmask_b32_e64 v2, 0, 1, vcc
	v_lshrrev_b32_e32 v3, 8, v1
	s_movk_i32 s30, 0xffe
	v_bfe_u32 v6, v1, 20, 11
	v_and_or_b32 v2, v3, s30, v2
	v_sub_u32_e32 v7, 0x3f1, v6
	v_or_b32_e32 v3, 0x1000, v2
	v_med3_i32 v7, v7, 0, 13
	v_lshrrev_b32_e32 v8, v7, v3
	v_lshlrev_b32_e32 v7, v7, v8
	v_cmp_ne_u32_e32 vcc, v7, v3
	v_cndmask_b32_e64 v3, 0, 1, vcc
	v_add_u32_e32 v6, 0xfffffc10, v6
	v_or_b32_e32 v3, v8, v3
	v_lshl_or_b32 v7, v6, 12, v2
	v_cmp_gt_i32_e32 vcc, 1, v6
	v_cndmask_b32_e32 v3, v7, v3, vcc
	v_and_b32_e32 v7, 7, v3
	v_cmp_lt_i32_e32 vcc, 5, v7
	v_cndmask_b32_e64 v8, 0, 1, vcc
	v_cmp_eq_u32_e32 vcc, 3, v7
	v_cndmask_b32_e64 v7, 0, 1, vcc
	v_or_b32_e32 v7, v7, v8
	v_lshrrev_b32_e32 v3, 2, v3
	v_add_u32_e32 v3, v3, v7
	v_mov_b32_e32 v7, 0x7c00
	v_cmp_gt_i32_e32 vcc, 31, v6
	v_cndmask_b32_e32 v3, v7, v3, vcc
	v_mov_b32_e32 v8, 0x7e00
	v_cmp_ne_u32_e32 vcc, 0, v2
	s_movk_i32 s30, 0x40f
	v_cndmask_b32_e32 v2, v7, v8, vcc
	v_cmp_eq_u32_e32 vcc, s30, v6
	v_cndmask_b32_e32 v2, v3, v2, vcc
	v_lshrrev_b32_e32 v3, 16, v1
	s_mov_b32 s30, 0x8000
	v_and_or_b32 v2, v3, s30, v2
	global_store_short v[4:5], v2, off
.LBB6_756:
	s_mov_b64 s[30:31], 0
.LBB6_757:
	s_andn2_b64 vcc, exec, s[30:31]
	s_cbranch_vccnz .LBB6_773
; %bb.758:
	s_cmp_lt_i32 s34, 2
	s_mov_b64 s[30:31], -1
	s_cbranch_scc1 .LBB6_768
; %bb.759:
	s_cmp_lt_i32 s34, 3
	s_cbranch_scc1 .LBB6_765
; %bb.760:
	s_cmp_gt_i32 s34, 3
	s_cbranch_scc0 .LBB6_762
; %bb.761:
	v_trunc_f64_e32 v[2:3], v[0:1]
	s_movk_i32 s30, 0xffe0
	v_ldexp_f64 v[6:7], v[2:3], s30
	s_mov_b32 s30, 0
	s_mov_b32 s31, 0xc1f00000
	v_floor_f64_e32 v[6:7], v[6:7]
	v_fma_f64 v[2:3], v[6:7], s[30:31], v[2:3]
	v_cvt_i32_f64_e32 v7, v[6:7]
	s_mov_b64 s[30:31], 0
	v_cvt_u32_f64_e32 v6, v[2:3]
	global_store_dwordx2 v[4:5], v[6:7], off
.LBB6_762:
	s_andn2_b64 vcc, exec, s[30:31]
	s_cbranch_vccnz .LBB6_764
; %bb.763:
	v_cvt_i32_f64_e32 v2, v[0:1]
	global_store_dword v[4:5], v2, off
.LBB6_764:
	s_mov_b64 s[30:31], 0
.LBB6_765:
	s_andn2_b64 vcc, exec, s[30:31]
	s_cbranch_vccnz .LBB6_767
; %bb.766:
	v_cvt_i32_f64_e32 v2, v[0:1]
	global_store_short v[4:5], v2, off
.LBB6_767:
	s_mov_b64 s[30:31], 0
.LBB6_768:
	s_andn2_b64 vcc, exec, s[30:31]
	s_cbranch_vccnz .LBB6_773
; %bb.769:
	s_cmp_gt_i32 s34, 0
	s_mov_b64 s[30:31], -1
	s_cbranch_scc0 .LBB6_771
; %bb.770:
	v_cvt_i32_f64_e32 v2, v[0:1]
	s_mov_b64 s[30:31], 0
	global_store_byte v[4:5], v2, off
.LBB6_771:
	s_andn2_b64 vcc, exec, s[30:31]
	s_cbranch_vccnz .LBB6_773
; %bb.772:
	v_trunc_f64_e32 v[0:1], v[0:1]
	s_movk_i32 s30, 0xffe0
	v_ldexp_f64 v[2:3], v[0:1], s30
	s_mov_b32 s30, 0
	s_mov_b32 s31, 0xc1f00000
	v_floor_f64_e32 v[2:3], v[2:3]
	v_fma_f64 v[0:1], v[2:3], s[30:31], v[0:1]
	v_cvt_u32_f64_e32 v0, v[0:1]
	global_store_byte v[4:5], v0, off
.LBB6_773:
	s_mov_b64 s[30:31], -1
.LBB6_774:
	s_andn2_b64 vcc, exec, s[30:31]
	s_cbranch_vccnz .LBB6_776
; %bb.775:
	v_add_u32_e32 v10, 0x80, v10
	s_mov_b64 s[34:35], -1
	s_branch .LBB6_777
.LBB6_776:
	s_mov_b64 s[34:35], 0
                                        ; implicit-def: $vgpr10
.LBB6_777:
	s_andn2_b64 s[30:31], s[22:23], exec
	s_and_b64 s[0:1], s[0:1], exec
	s_or_b64 s[30:31], s[30:31], s[0:1]
	s_andn2_b64 s[0:1], s[20:21], exec
	s_and_b64 s[28:29], s[28:29], exec
	s_or_b64 s[0:1], s[0:1], s[28:29]
	s_orn2_b64 s[36:37], s[34:35], exec
.LBB6_778:
	s_or_b64 exec, exec, s[26:27]
	s_mov_b64 s[34:35], 0
	s_mov_b64 s[28:29], 0
	;; [unrolled: 1-line block ×3, first 2 shown]
                                        ; implicit-def: $vgpr0_vgpr1
                                        ; implicit-def: $vgpr2_vgpr3
	s_and_saveexec_b64 s[26:27], s[36:37]
	s_cbranch_execz .LBB6_863
; %bb.779:
	v_cmp_gt_i32_e32 vcc, s40, v10
	s_mov_b64 s[36:37], 0
	s_mov_b64 s[40:41], s[0:1]
	s_mov_b64 s[42:43], 0
                                        ; implicit-def: $vgpr0_vgpr1
                                        ; implicit-def: $vgpr2_vgpr3
	s_and_saveexec_b64 s[28:29], vcc
	s_cbranch_execz .LBB6_862
; %bb.780:
	v_mul_lo_u32 v0, v10, s13
	v_mov_b32_e32 v1, s11
	s_and_b32 s45, 0xffff, s44
	s_cmp_lt_i32 s45, 11
	s_waitcnt vmcnt(0)
	v_ashrrev_i32_e32 v2, 31, v0
	v_add_co_u32_e32 v0, vcc, s10, v0
	v_addc_co_u32_e32 v1, vcc, v1, v2, vcc
	s_cbranch_scc1 .LBB6_787
; %bb.781:
	s_cmp_gt_i32 s45, 25
	s_cbranch_scc0 .LBB6_788
; %bb.782:
	s_cmp_gt_i32 s45, 28
	s_cbranch_scc0 .LBB6_789
	;; [unrolled: 3-line block ×4, first 2 shown]
; %bb.785:
	s_cmp_eq_u32 s45, 46
	s_mov_b64 s[40:41], 0
	s_cbranch_scc0 .LBB6_796
; %bb.786:
	global_load_dword v2, v[0:1], off
	s_mov_b64 s[38:39], -1
	s_waitcnt vmcnt(0)
	v_lshlrev_b32_e32 v2, 16, v2
	v_cvt_f64_f32_e32 v[2:3], v2
	s_branch .LBB6_798
.LBB6_787:
	s_mov_b64 s[40:41], -1
                                        ; implicit-def: $vgpr2_vgpr3
	s_mov_b64 s[34:35], s[0:1]
	s_branch .LBB6_861
.LBB6_788:
	s_mov_b64 s[40:41], -1
	s_mov_b64 s[34:35], s[0:1]
                                        ; implicit-def: $vgpr2_vgpr3
	s_branch .LBB6_829
.LBB6_789:
	s_mov_b64 s[40:41], -1
	s_mov_b64 s[34:35], s[0:1]
                                        ; implicit-def: $vgpr2_vgpr3
	s_branch .LBB6_808
.LBB6_790:
	s_mov_b64 s[40:41], -1
	s_mov_b64 s[34:35], s[0:1]
                                        ; implicit-def: $vgpr2_vgpr3
	s_branch .LBB6_803
.LBB6_791:
	s_andn2_saveexec_b64 s[36:37], s[36:37]
	s_cbranch_execz .LBB6_687
.LBB6_792:
	s_mov_b32 s41, 0x46000000
	v_add_f32_e64 v3, |v2|, s41
	v_and_b32_e32 v3, 0xff, v3
	v_cmp_ne_u32_e32 vcc, 0, v3
	s_andn2_b64 s[34:35], s[34:35], exec
	s_and_b64 s[42:43], vcc, exec
	s_or_b64 s[34:35], s[34:35], s[42:43]
	s_or_b64 exec, exec, s[36:37]
	v_mov_b32_e32 v6, 0
	s_and_saveexec_b64 s[36:37], s[34:35]
	s_cbranch_execnz .LBB6_688
	s_branch .LBB6_689
.LBB6_793:
	s_mov_b64 s[40:41], -1
	s_mov_b64 s[34:35], s[0:1]
	s_branch .LBB6_797
.LBB6_794:
	s_andn2_saveexec_b64 s[36:37], s[36:37]
	s_cbranch_execz .LBB6_700
.LBB6_795:
	s_mov_b32 s41, 0x42800000
	v_add_f32_e64 v3, |v2|, s41
	v_and_b32_e32 v3, 0xff, v3
	v_cmp_ne_u32_e32 vcc, 0, v3
	s_andn2_b64 s[34:35], s[34:35], exec
	s_and_b64 s[42:43], vcc, exec
	s_or_b64 s[34:35], s[34:35], s[42:43]
	s_or_b64 exec, exec, s[36:37]
	v_mov_b32_e32 v6, 0
	s_and_saveexec_b64 s[36:37], s[34:35]
	s_cbranch_execnz .LBB6_701
	s_branch .LBB6_702
.LBB6_796:
	s_mov_b64 s[34:35], -1
.LBB6_797:
                                        ; implicit-def: $vgpr2_vgpr3
.LBB6_798:
	s_and_b64 vcc, exec, s[40:41]
	s_cbranch_vccz .LBB6_802
; %bb.799:
	s_cmp_eq_u32 s45, 44
	s_cbranch_scc0 .LBB6_801
; %bb.800:
	global_load_ubyte v4, v[0:1], off
	s_movk_i32 s38, 0xff
	v_bfrev_b32_e32 v5, 4
	v_mov_b32_e32 v6, 0x7ff80000
	v_bfrev_b32_e32 v7, 28
	s_mov_b64 s[34:35], 0
	s_waitcnt vmcnt(0)
	v_lshlrev_b32_e32 v2, 23, v4
	v_cvt_f64_f32_e32 v[2:3], v2
	v_cmp_ne_u32_e32 vcc, s38, v4
	s_mov_b64 s[38:39], -1
	v_cndmask_b32_e32 v2, v5, v2, vcc
	v_cndmask_b32_e32 v3, v6, v3, vcc
	v_cmp_ne_u32_e32 vcc, 0, v4
	v_cndmask_b32_e32 v3, v7, v3, vcc
	v_cndmask_b32_e32 v2, 0, v2, vcc
	s_branch .LBB6_802
.LBB6_801:
	s_mov_b64 s[34:35], -1
                                        ; implicit-def: $vgpr2_vgpr3
.LBB6_802:
	s_mov_b64 s[40:41], 0
.LBB6_803:
	s_and_b64 vcc, exec, s[40:41]
	s_cbranch_vccz .LBB6_807
; %bb.804:
	s_cmp_eq_u32 s45, 29
	s_cbranch_scc0 .LBB6_806
; %bb.805:
	global_load_dwordx2 v[2:3], v[0:1], off
	s_mov_b64 s[34:35], 0
	s_mov_b64 s[38:39], -1
	s_mov_b64 s[40:41], 0
	s_waitcnt vmcnt(0)
	v_cvt_f64_u32_e32 v[3:4], v3
	v_cvt_f64_u32_e32 v[5:6], v2
	v_ldexp_f64 v[3:4], v[3:4], 32
	v_add_f64 v[2:3], v[3:4], v[5:6]
	s_branch .LBB6_808
.LBB6_806:
	s_mov_b64 s[34:35], -1
                                        ; implicit-def: $vgpr2_vgpr3
.LBB6_807:
	s_mov_b64 s[40:41], 0
.LBB6_808:
	s_and_b64 vcc, exec, s[40:41]
	s_cbranch_vccz .LBB6_828
; %bb.809:
	s_cmp_lt_i32 s45, 27
	s_cbranch_scc1 .LBB6_812
; %bb.810:
	s_cmp_gt_i32 s45, 27
	s_cbranch_scc0 .LBB6_813
; %bb.811:
	global_load_dword v2, v[0:1], off
	s_mov_b64 s[38:39], 0
	s_waitcnt vmcnt(0)
	v_cvt_f64_u32_e32 v[2:3], v2
	s_branch .LBB6_814
.LBB6_812:
	s_mov_b64 s[38:39], -1
                                        ; implicit-def: $vgpr2_vgpr3
	s_branch .LBB6_817
.LBB6_813:
	s_mov_b64 s[38:39], -1
                                        ; implicit-def: $vgpr2_vgpr3
.LBB6_814:
	s_andn2_b64 vcc, exec, s[38:39]
	s_cbranch_vccnz .LBB6_816
; %bb.815:
	global_load_ushort v2, v[0:1], off
	s_waitcnt vmcnt(0)
	v_cvt_f64_u32_e32 v[2:3], v2
.LBB6_816:
	s_mov_b64 s[38:39], 0
.LBB6_817:
	s_andn2_b64 vcc, exec, s[38:39]
	s_cbranch_vccnz .LBB6_827
; %bb.818:
	global_load_ubyte v4, v[0:1], off
	s_movk_i32 s38, 0x7f
	s_waitcnt vmcnt(0)
	v_cmp_lt_i16_e32 vcc, s38, v4
	s_mov_b64 s[38:39], 0
	s_and_saveexec_b64 s[40:41], vcc
	s_xor_b64 s[40:41], exec, s[40:41]
	s_cbranch_execz .LBB6_822
; %bb.819:
	s_movk_i32 s38, 0x80
	v_cmp_eq_u16_e32 vcc, s38, v4
	s_mov_b64 s[38:39], -1
	s_and_saveexec_b64 s[42:43], vcc
; %bb.820:
	s_xor_b64 s[38:39], exec, -1
; %bb.821:
	s_or_b64 exec, exec, s[42:43]
	s_and_b64 s[38:39], s[38:39], exec
.LBB6_822:
	s_or_saveexec_b64 s[40:41], s[40:41]
	v_bfrev_b32_e32 v2, 4
	v_mov_b32_e32 v3, 0x7ff80000
	s_xor_b64 exec, exec, s[40:41]
; %bb.823:
	v_cmp_ne_u16_e32 vcc, 0, v4
	v_mov_b32_e32 v2, 0
	s_andn2_b64 s[38:39], s[38:39], exec
	s_and_b64 s[42:43], vcc, exec
	v_mov_b32_e32 v3, 0
	s_or_b64 s[38:39], s[38:39], s[42:43]
; %bb.824:
	s_or_b64 exec, exec, s[40:41]
	s_and_saveexec_b64 s[40:41], s[38:39]
	s_cbranch_execz .LBB6_826
; %bb.825:
	v_and_b32_e32 v3, 0xffff, v4
	v_lshlrev_b32_e32 v2, 24, v4
	v_and_b32_e32 v4, 7, v3
	v_ffbh_u32_e32 v6, v4
	v_min_u32_e32 v6, 32, v6
	v_subrev_u32_e32 v7, 28, v6
	v_bfe_u32 v5, v3, 3, 4
	v_lshlrev_b32_e32 v3, v7, v3
	v_sub_u32_e32 v6, 29, v6
	v_and_b32_e32 v3, 7, v3
	v_cmp_eq_u32_e32 vcc, 0, v5
	v_cndmask_b32_e32 v5, v5, v6, vcc
	v_cndmask_b32_e32 v3, v4, v3, vcc
	v_mov_b32_e32 v4, 0x3b800000
	v_lshlrev_b32_e32 v3, 20, v3
	v_and_b32_e32 v2, 0x80000000, v2
	v_lshl_add_u32 v4, v5, 23, v4
	v_or3_b32 v2, v2, v4, v3
	v_cvt_f64_f32_e32 v[2:3], v2
.LBB6_826:
	s_or_b64 exec, exec, s[40:41]
.LBB6_827:
	s_mov_b64 s[38:39], -1
.LBB6_828:
	s_mov_b64 s[40:41], 0
.LBB6_829:
	s_and_b64 vcc, exec, s[40:41]
	s_cbranch_vccz .LBB6_860
; %bb.830:
	s_cmp_gt_i32 s45, 22
	s_cbranch_scc0 .LBB6_842
; %bb.831:
	s_cmp_lt_i32 s45, 24
	s_cbranch_scc1 .LBB6_843
; %bb.832:
	s_cmp_gt_i32 s45, 24
	s_cbranch_scc0 .LBB6_844
; %bb.833:
	global_load_ubyte v4, v[0:1], off
	s_movk_i32 s36, 0x7f
	s_waitcnt vmcnt(0)
	v_cmp_lt_i16_e32 vcc, s36, v4
	s_mov_b64 s[36:37], 0
	s_and_saveexec_b64 s[38:39], vcc
	s_xor_b64 s[38:39], exec, s[38:39]
	s_cbranch_execz .LBB6_837
; %bb.834:
	s_movk_i32 s36, 0x80
	v_cmp_eq_u16_e32 vcc, s36, v4
	s_mov_b64 s[36:37], -1
	s_and_saveexec_b64 s[40:41], vcc
; %bb.835:
	s_xor_b64 s[36:37], exec, -1
; %bb.836:
	s_or_b64 exec, exec, s[40:41]
	s_and_b64 s[36:37], s[36:37], exec
.LBB6_837:
	s_or_saveexec_b64 s[38:39], s[38:39]
	v_bfrev_b32_e32 v2, 4
	v_mov_b32_e32 v3, 0x7ff80000
	s_xor_b64 exec, exec, s[38:39]
; %bb.838:
	v_cmp_ne_u16_e32 vcc, 0, v4
	v_mov_b32_e32 v2, 0
	s_andn2_b64 s[36:37], s[36:37], exec
	s_and_b64 s[40:41], vcc, exec
	v_mov_b32_e32 v3, 0
	s_or_b64 s[36:37], s[36:37], s[40:41]
; %bb.839:
	s_or_b64 exec, exec, s[38:39]
	s_and_saveexec_b64 s[38:39], s[36:37]
	s_cbranch_execz .LBB6_841
; %bb.840:
	v_and_b32_e32 v3, 0xffff, v4
	v_lshlrev_b32_e32 v2, 24, v4
	v_and_b32_e32 v4, 3, v3
	v_ffbh_u32_e32 v6, v4
	v_min_u32_e32 v6, 32, v6
	v_subrev_u32_e32 v7, 29, v6
	v_bfe_u32 v5, v3, 2, 5
	v_lshlrev_b32_e32 v3, v7, v3
	v_sub_u32_e32 v6, 30, v6
	v_and_b32_e32 v3, 3, v3
	v_cmp_eq_u32_e32 vcc, 0, v5
	v_cndmask_b32_e32 v5, v5, v6, vcc
	v_cndmask_b32_e32 v3, v4, v3, vcc
	v_mov_b32_e32 v4, 0x37800000
	v_lshlrev_b32_e32 v3, 21, v3
	v_and_b32_e32 v2, 0x80000000, v2
	v_lshl_add_u32 v4, v5, 23, v4
	v_or3_b32 v2, v2, v4, v3
	v_cvt_f64_f32_e32 v[2:3], v2
.LBB6_841:
	s_or_b64 exec, exec, s[38:39]
	s_mov_b64 s[36:37], 0
	s_branch .LBB6_845
.LBB6_842:
	s_mov_b64 s[36:37], -1
                                        ; implicit-def: $vgpr2_vgpr3
	s_branch .LBB6_851
.LBB6_843:
	s_mov_b64 s[36:37], -1
                                        ; implicit-def: $vgpr2_vgpr3
	s_branch .LBB6_848
.LBB6_844:
	s_mov_b64 s[36:37], -1
                                        ; implicit-def: $vgpr2_vgpr3
.LBB6_845:
	s_and_b64 vcc, exec, s[36:37]
	s_cbranch_vccz .LBB6_847
; %bb.846:
	global_load_ubyte v2, v[0:1], off
	s_mov_b32 s36, 0x7f800000
	s_waitcnt vmcnt(0)
	v_lshlrev_b32_e32 v2, 24, v2
	v_and_b32_e32 v3, 0x7f000000, v2
	v_ffbh_u32_e32 v4, v3
	v_min_u32_e32 v4, 32, v4
	v_sub_u32_e64 v4, v4, 4 clamp
	v_lshlrev_b32_e32 v6, v4, v3
	v_lshlrev_b32_e32 v4, 23, v4
	v_lshrrev_b32_e32 v6, 4, v6
	v_add_u32_e32 v5, 0x1000000, v3
	v_sub_u32_e32 v4, v6, v4
	v_ashrrev_i32_e32 v5, 8, v5
	v_add_u32_e32 v4, 0x3c000000, v4
	v_and_or_b32 v4, v5, s36, v4
	v_cmp_ne_u32_e32 vcc, 0, v3
	v_cndmask_b32_e32 v3, 0, v4, vcc
	s_brev_b32 s36, 1
	v_and_or_b32 v2, v2, s36, v3
	v_cvt_f64_f32_e32 v[2:3], v2
.LBB6_847:
	s_mov_b64 s[36:37], 0
.LBB6_848:
	s_andn2_b64 vcc, exec, s[36:37]
	s_cbranch_vccnz .LBB6_850
; %bb.849:
	global_load_ubyte v2, v[0:1], off
	s_movk_i32 s36, 0x7f00
	s_brev_b32 s37, 16
	s_waitcnt vmcnt(0)
	v_lshlrev_b16_e32 v3, 8, v2
	v_lshlrev_b32_e32 v2, 25, v2
	v_lshrrev_b32_e32 v4, 4, v2
	v_and_or_b32 v5, v3, s36, 0.5
	v_or_b32_e32 v4, 0x70000000, v4
	v_add_f32_e32 v5, -0.5, v5
	v_mul_f32_e32 v4, 0x7800000, v4
	v_cmp_gt_u32_e32 vcc, s37, v2
	v_bfe_i32 v3, v3, 0, 16
	v_cndmask_b32_e32 v2, v4, v5, vcc
	s_brev_b32 s36, 1
	v_and_or_b32 v2, v3, s36, v2
	v_cvt_f64_f32_e32 v[2:3], v2
.LBB6_850:
	s_mov_b64 s[36:37], 0
	s_mov_b64 s[38:39], -1
.LBB6_851:
	s_andn2_b64 vcc, exec, s[36:37]
	s_mov_b64 s[36:37], 0
	s_cbranch_vccnz .LBB6_860
; %bb.852:
	s_cmp_gt_i32 s45, 14
	s_cbranch_scc0 .LBB6_855
; %bb.853:
	s_cmp_eq_u32 s45, 15
	s_cbranch_scc0 .LBB6_856
; %bb.854:
	global_load_ushort v2, v[0:1], off
	s_mov_b64 s[34:35], 0
	s_mov_b64 s[38:39], -1
	s_waitcnt vmcnt(0)
	v_lshlrev_b32_e32 v2, 16, v2
	v_cvt_f64_f32_e32 v[2:3], v2
	s_branch .LBB6_857
.LBB6_855:
	s_mov_b64 s[40:41], -1
                                        ; implicit-def: $vgpr2_vgpr3
	s_branch .LBB6_858
.LBB6_856:
	s_mov_b64 s[34:35], -1
                                        ; implicit-def: $vgpr2_vgpr3
.LBB6_857:
	s_mov_b64 s[40:41], 0
.LBB6_858:
	s_and_b64 vcc, exec, s[40:41]
	s_cbranch_vccz .LBB6_860
; %bb.859:
	s_cmp_lg_u32 s45, 11
	s_cselect_b64 s[40:41], -1, 0
	s_andn2_b64 s[34:35], s[34:35], exec
	s_and_b64 s[40:41], s[40:41], exec
	s_mov_b64 s[36:37], -1
	s_or_b64 s[34:35], s[34:35], s[40:41]
.LBB6_860:
	s_mov_b64 s[40:41], 0
.LBB6_861:
	s_and_b64 s[42:43], s[40:41], exec
	s_andn2_b64 s[40:41], s[0:1], exec
	s_and_b64 s[34:35], s[34:35], exec
	s_and_b64 s[38:39], s[38:39], exec
	;; [unrolled: 1-line block ×3, first 2 shown]
	s_or_b64 s[40:41], s[40:41], s[34:35]
.LBB6_862:
	s_or_b64 exec, exec, s[28:29]
	s_and_b64 s[34:35], s[36:37], exec
	s_andn2_b64 s[0:1], s[0:1], exec
	s_and_b64 s[36:37], s[40:41], exec
	s_and_b64 s[38:39], s[38:39], exec
	;; [unrolled: 1-line block ×3, first 2 shown]
	s_or_b64 s[0:1], s[0:1], s[36:37]
.LBB6_863:
	s_or_b64 exec, exec, s[26:27]
	s_andn2_b64 s[22:23], s[22:23], exec
	s_and_b64 s[26:27], s[30:31], exec
	s_andn2_b64 s[20:21], s[20:21], exec
	s_and_b64 s[0:1], s[0:1], exec
	s_or_b64 s[22:23], s[22:23], s[26:27]
	s_and_b64 s[30:31], s[38:39], exec
	s_and_b64 s[28:29], s[28:29], exec
	;; [unrolled: 1-line block ×3, first 2 shown]
	s_or_b64 s[20:21], s[20:21], s[0:1]
.LBB6_864:
	s_or_b64 exec, exec, s[24:25]
	s_andn2_b64 s[0:1], s[6:7], exec
	s_and_b64 s[6:7], s[22:23], exec
	s_andn2_b64 s[16:17], s[16:17], exec
	s_and_b64 s[20:21], s[20:21], exec
	s_or_b64 s[6:7], s[0:1], s[6:7]
	s_and_b64 s[0:1], s[30:31], exec
	s_and_b64 s[24:25], s[28:29], exec
	s_and_b64 s[22:23], s[26:27], exec
	s_or_b64 s[16:17], s[16:17], s[20:21]
	s_or_b64 exec, exec, s[18:19]
	s_mov_b64 s[18:19], 0
	s_and_saveexec_b64 s[20:21], s[16:17]
	s_cbranch_execz .LBB6_264
.LBB6_865:
	s_mov_b64 s[18:19], exec
	s_andn2_b64 s[22:23], s[22:23], exec
	s_trap 2
	s_or_b64 exec, exec, s[20:21]
	s_and_saveexec_b64 s[16:17], s[22:23]
	s_xor_b64 s[16:17], exec, s[16:17]
	s_cbranch_execnz .LBB6_265
.LBB6_866:
	s_or_b64 exec, exec, s[16:17]
	s_and_saveexec_b64 s[16:17], s[24:25]
	s_cbranch_execz .LBB6_912
.LBB6_867:
	s_sext_i32_i16 s20, s44
	s_cmp_lt_i32 s20, 5
	s_cbranch_scc1 .LBB6_872
; %bb.868:
	s_cmp_lt_i32 s20, 8
	s_cbranch_scc1 .LBB6_873
; %bb.869:
	;; [unrolled: 3-line block ×3, first 2 shown]
	s_cmp_gt_i32 s20, 9
	s_cbranch_scc0 .LBB6_875
; %bb.871:
	global_load_dwordx2 v[2:3], v[0:1], off
	s_mov_b64 s[20:21], 0
	s_branch .LBB6_876
.LBB6_872:
                                        ; implicit-def: $vgpr2_vgpr3
	s_branch .LBB6_893
.LBB6_873:
                                        ; implicit-def: $vgpr2_vgpr3
	s_branch .LBB6_882
.LBB6_874:
	s_mov_b64 s[20:21], -1
                                        ; implicit-def: $vgpr2_vgpr3
	s_branch .LBB6_879
.LBB6_875:
	s_mov_b64 s[20:21], -1
                                        ; implicit-def: $vgpr2_vgpr3
.LBB6_876:
	s_andn2_b64 vcc, exec, s[20:21]
	s_cbranch_vccnz .LBB6_878
; %bb.877:
	global_load_dword v2, v[0:1], off
	s_waitcnt vmcnt(0)
	v_cvt_f64_f32_e32 v[2:3], v2
.LBB6_878:
	s_mov_b64 s[20:21], 0
.LBB6_879:
	s_andn2_b64 vcc, exec, s[20:21]
	s_cbranch_vccnz .LBB6_881
; %bb.880:
	global_load_dword v2, v[0:1], off
	s_waitcnt vmcnt(0)
	v_cvt_f32_f16_e32 v2, v2
	v_cvt_f64_f32_e32 v[2:3], v2
.LBB6_881:
	s_cbranch_execnz .LBB6_892
.LBB6_882:
	s_sext_i32_i16 s20, s44
	s_cmp_lt_i32 s20, 6
	s_cbranch_scc1 .LBB6_885
; %bb.883:
	s_cmp_gt_i32 s20, 6
	s_cbranch_scc0 .LBB6_886
; %bb.884:
	global_load_dwordx2 v[2:3], v[0:1], off
	s_mov_b64 s[20:21], 0
	s_branch .LBB6_887
.LBB6_885:
	s_mov_b64 s[20:21], -1
                                        ; implicit-def: $vgpr2_vgpr3
	s_branch .LBB6_890
.LBB6_886:
	s_mov_b64 s[20:21], -1
                                        ; implicit-def: $vgpr2_vgpr3
.LBB6_887:
	s_andn2_b64 vcc, exec, s[20:21]
	s_cbranch_vccnz .LBB6_889
; %bb.888:
	global_load_dword v2, v[0:1], off
	s_waitcnt vmcnt(0)
	v_cvt_f64_f32_e32 v[2:3], v2
.LBB6_889:
	s_mov_b64 s[20:21], 0
.LBB6_890:
	s_andn2_b64 vcc, exec, s[20:21]
	s_cbranch_vccnz .LBB6_892
; %bb.891:
	global_load_ushort v2, v[0:1], off
	s_waitcnt vmcnt(0)
	v_cvt_f32_f16_e32 v2, v2
	v_cvt_f64_f32_e32 v[2:3], v2
.LBB6_892:
	s_cbranch_execnz .LBB6_911
.LBB6_893:
	s_sext_i32_i16 s20, s44
	s_cmp_lt_i32 s20, 2
	s_cbranch_scc1 .LBB6_897
; %bb.894:
	s_cmp_lt_i32 s20, 3
	s_cbranch_scc1 .LBB6_898
; %bb.895:
	s_cmp_gt_i32 s20, 3
	s_cbranch_scc0 .LBB6_899
; %bb.896:
	global_load_dwordx2 v[2:3], v[0:1], off
	s_mov_b64 s[20:21], 0
	s_waitcnt vmcnt(0)
	v_cvt_f64_i32_e32 v[3:4], v3
	v_cvt_f64_u32_e32 v[5:6], v2
	v_ldexp_f64 v[3:4], v[3:4], 32
	v_add_f64 v[2:3], v[3:4], v[5:6]
	s_branch .LBB6_900
.LBB6_897:
                                        ; implicit-def: $vgpr2_vgpr3
	s_branch .LBB6_906
.LBB6_898:
	s_mov_b64 s[20:21], -1
                                        ; implicit-def: $vgpr2_vgpr3
	s_branch .LBB6_903
.LBB6_899:
	s_mov_b64 s[20:21], -1
                                        ; implicit-def: $vgpr2_vgpr3
.LBB6_900:
	s_andn2_b64 vcc, exec, s[20:21]
	s_cbranch_vccnz .LBB6_902
; %bb.901:
	global_load_dword v2, v[0:1], off
	s_waitcnt vmcnt(0)
	v_cvt_f64_i32_e32 v[2:3], v2
.LBB6_902:
	s_mov_b64 s[20:21], 0
.LBB6_903:
	s_andn2_b64 vcc, exec, s[20:21]
	s_cbranch_vccnz .LBB6_905
; %bb.904:
	global_load_sshort v2, v[0:1], off
	s_waitcnt vmcnt(0)
	v_cvt_f64_i32_e32 v[2:3], v2
.LBB6_905:
	s_cbranch_execnz .LBB6_911
.LBB6_906:
	s_sext_i32_i16 s20, s44
	s_cmp_gt_i32 s20, 0
	s_cbranch_scc0 .LBB6_908
; %bb.907:
	global_load_sbyte v2, v[0:1], off
	s_mov_b64 s[20:21], 0
	s_waitcnt vmcnt(0)
	v_cvt_f64_i32_e32 v[2:3], v2
	s_branch .LBB6_909
.LBB6_908:
	s_mov_b64 s[20:21], -1
                                        ; implicit-def: $vgpr2_vgpr3
.LBB6_909:
	s_andn2_b64 vcc, exec, s[20:21]
	s_cbranch_vccnz .LBB6_911
; %bb.910:
	global_load_ubyte v0, v[0:1], off
	s_waitcnt vmcnt(0)
	v_cvt_f64_u32_e32 v[2:3], v0
.LBB6_911:
	s_or_b64 s[0:1], s[0:1], exec
.LBB6_912:
	s_or_b64 exec, exec, s[16:17]
	s_mov_b64 s[22:23], 0
	s_mov_b64 s[20:21], 0
                                        ; implicit-def: $sgpr28
                                        ; implicit-def: $vgpr4_vgpr5
                                        ; implicit-def: $vgpr0_vgpr1
	s_and_saveexec_b64 s[16:17], s[0:1]
	s_cbranch_execz .LBB6_922
; %bb.913:
	s_waitcnt vmcnt(0)
	v_cmp_lt_f64_e32 vcc, s[14:15], v[2:3]
	v_mov_b32_e32 v0, 0
	v_mov_b32_e32 v1, 0x3ff00000
	s_and_saveexec_b64 s[0:1], vcc
	s_cbranch_execz .LBB6_915
; %bb.914:
	s_mov_b32 s20, 0x9abcaf48
	s_mov_b32 s21, 0x3e7ad7f2
	v_add_f64 v[0:1], v[2:3], s[20:21]
	v_div_scale_f64 v[2:3], s[20:21], v[0:1], v[0:1], s[14:15]
	v_div_scale_f64 v[8:9], vcc, s[14:15], v[0:1], s[14:15]
	v_rcp_f64_e32 v[4:5], v[2:3]
	v_fma_f64 v[6:7], -v[2:3], v[4:5], 1.0
	v_fma_f64 v[4:5], v[4:5], v[6:7], v[4:5]
	v_fma_f64 v[6:7], -v[2:3], v[4:5], 1.0
	v_fma_f64 v[4:5], v[4:5], v[6:7], v[4:5]
	v_mul_f64 v[6:7], v[8:9], v[4:5]
	v_fma_f64 v[2:3], -v[2:3], v[6:7], v[8:9]
	v_div_fmas_f64 v[2:3], v[2:3], v[4:5], v[6:7]
	v_div_fixup_f64 v[0:1], v[2:3], v[0:1], s[14:15]
.LBB6_915:
	s_or_b64 exec, exec, s[0:1]
	v_mul_lo_u32 v2, v10, s12
	v_mov_b32_e32 v3, s9
	s_and_b32 s28, s33, 0xff
	s_cmp_lt_i32 s28, 11
	v_ashrrev_i32_e32 v5, 31, v2
	v_add_co_u32_e32 v4, vcc, s8, v2
	v_addc_co_u32_e32 v5, vcc, v3, v5, vcc
	s_cbranch_scc1 .LBB6_925
; %bb.916:
	s_and_b32 s29, 0xffff, s28
	s_mov_b64 s[22:23], -1
	s_cmp_gt_i32 s29, 25
	s_mov_b64 s[0:1], s[6:7]
	s_cbranch_scc0 .LBB6_953
; %bb.917:
	s_mov_b64 s[20:21], -1
	s_cmp_gt_i32 s29, 28
	s_mov_b64 s[0:1], s[6:7]
	s_cbranch_scc0 .LBB6_937
; %bb.918:
	s_cmp_gt_i32 s29, 43
	s_mov_b64 s[0:1], s[6:7]
	s_cbranch_scc0 .LBB6_933
; %bb.919:
	;; [unrolled: 4-line block ×3, first 2 shown]
	s_cmp_eq_u32 s29, 46
	s_mov_b64 s[0:1], -1
	s_cbranch_scc0 .LBB6_926
; %bb.921:
	v_cvt_f32_f64_e32 v2, v[0:1]
	s_movk_i32 s0, 0x7fff
	v_mov_b32_e32 v3, 0x7fc0
	s_mov_b64 s[20:21], 0
	v_bfe_u32 v6, v2, 16, 1
	v_cmp_o_f32_e32 vcc, v2, v2
	v_add3_u32 v2, v2, v6, s0
	v_cndmask_b32_sdwa v2, v3, v2, vcc dst_sel:DWORD dst_unused:UNUSED_PAD src0_sel:DWORD src1_sel:WORD_1
	global_store_dword v[4:5], v2, off
	s_mov_b64 s[0:1], 0
	s_branch .LBB6_927
.LBB6_922:
	s_or_b64 exec, exec, s[16:17]
	s_and_saveexec_b64 s[0:1], s[6:7]
	s_cbranch_execnz .LBB6_995
.LBB6_923:
	s_or_b64 exec, exec, s[0:1]
	s_and_saveexec_b64 s[0:1], s[22:23]
	s_xor_b64 s[0:1], exec, s[0:1]
	s_cbranch_execz .LBB6_996
.LBB6_924:
	v_cmp_neq_f64_e32 vcc, 0, v[0:1]
	s_waitcnt vmcnt(0)
	v_cndmask_b32_e64 v2, 0, 1, vcc
	global_store_byte v[4:5], v2, off
	s_or_b64 exec, exec, s[0:1]
	s_and_saveexec_b64 s[0:1], s[20:21]
	s_xor_b64 s[0:1], exec, s[0:1]
	s_cbranch_execz .LBB6_1034
	s_branch .LBB6_997
.LBB6_925:
	s_mov_b64 s[20:21], -1
	s_mov_b64 s[0:1], s[6:7]
	s_branch .LBB6_994
.LBB6_926:
	s_mov_b64 s[20:21], 0
.LBB6_927:
	s_and_b64 vcc, exec, s[20:21]
	s_cbranch_vccz .LBB6_932
; %bb.928:
	s_cmp_eq_u32 s29, 44
	s_mov_b64 s[0:1], -1
	s_cbranch_scc0 .LBB6_932
; %bb.929:
	v_cvt_f32_f64_e32 v2, v[0:1]
	s_movk_i32 s0, 0xff
	v_mov_b32_e32 v6, 0xff
	v_bfe_u32 v3, v2, 23, 8
	v_cmp_ne_u32_e32 vcc, s0, v3
	s_and_saveexec_b64 s[20:21], vcc
; %bb.930:
	s_mov_b32 s0, 0x3fffff
	v_lshrrev_b32_e32 v6, 23, v2
	v_and_b32_e32 v7, 0x400000, v2
	v_and_or_b32 v2, v2, s0, v3
	v_cmp_ne_u32_e32 vcc, 0, v7
	v_cmp_ne_u32_e64 s[0:1], 0, v2
	s_and_b64 s[0:1], vcc, s[0:1]
	v_cndmask_b32_e64 v2, 0, 1, s[0:1]
	v_add_u32_e32 v6, v6, v2
; %bb.931:
	s_or_b64 exec, exec, s[20:21]
	s_mov_b64 s[0:1], 0
	global_store_byte v[4:5], v6, off
.LBB6_932:
	s_mov_b64 s[20:21], 0
.LBB6_933:
	s_and_b64 vcc, exec, s[20:21]
	s_cbranch_vccz .LBB6_936
; %bb.934:
	s_cmp_eq_u32 s29, 29
	s_mov_b64 s[0:1], -1
	s_cbranch_scc0 .LBB6_936
; %bb.935:
	v_trunc_f64_e32 v[2:3], v[0:1]
	s_movk_i32 s0, 0xffe0
	s_mov_b64 s[20:21], 0
	v_ldexp_f64 v[6:7], v[2:3], s0
	s_mov_b32 s0, 0
	s_mov_b32 s1, 0xc1f00000
	v_floor_f64_e32 v[6:7], v[6:7]
	v_fma_f64 v[2:3], v[6:7], s[0:1], v[2:3]
	v_cvt_u32_f64_e32 v7, v[6:7]
	s_mov_b64 s[0:1], 0
	v_cvt_u32_f64_e32 v6, v[2:3]
	global_store_dwordx2 v[4:5], v[6:7], off
	s_branch .LBB6_937
.LBB6_936:
	s_mov_b64 s[20:21], 0
.LBB6_937:
	s_and_b64 vcc, exec, s[20:21]
	s_cbranch_vccz .LBB6_952
; %bb.938:
	s_cmp_lt_i32 s29, 27
	s_mov_b64 s[20:21], -1
	s_cbranch_scc1 .LBB6_944
; %bb.939:
	v_cvt_u32_f64_e32 v2, v[0:1]
	s_cmp_gt_i32 s29, 27
	s_cbranch_scc0 .LBB6_941
; %bb.940:
	s_mov_b64 s[20:21], 0
	global_store_dword v[4:5], v2, off
.LBB6_941:
	s_andn2_b64 vcc, exec, s[20:21]
	s_cbranch_vccnz .LBB6_943
; %bb.942:
	global_store_short v[4:5], v2, off
.LBB6_943:
	s_mov_b64 s[20:21], 0
.LBB6_944:
	s_andn2_b64 vcc, exec, s[20:21]
	s_cbranch_vccnz .LBB6_952
; %bb.945:
	v_cvt_f32_f64_e32 v2, v[0:1]
	s_mov_b32 s20, 0x43800000
	v_mov_b32_e32 v6, 0x80
	v_and_b32_e32 v3, 0x7fffffff, v2
	v_cmp_gt_u32_e32 vcc, s20, v3
	s_and_saveexec_b64 s[20:21], vcc
	s_cbranch_execz .LBB6_951
; %bb.946:
	s_mov_b32 s22, 0x3bffffff
	v_cmp_lt_u32_e32 vcc, s22, v3
	s_mov_b64 s[22:23], 0
                                        ; implicit-def: $vgpr3
	s_and_saveexec_b64 s[24:25], vcc
	s_xor_b64 s[24:25], exec, s[24:25]
	s_cbranch_execz .LBB6_1049
; %bb.947:
	v_bfe_u32 v3, v2, 20, 1
	s_mov_b32 s26, 0x487ffff
	v_add3_u32 v3, v2, v3, s26
	s_mov_b64 s[22:23], exec
	v_lshrrev_b32_e32 v3, 20, v3
	s_andn2_saveexec_b64 s[24:25], s[24:25]
	s_cbranch_execnz .LBB6_1050
.LBB6_948:
	s_or_b64 exec, exec, s[24:25]
	v_mov_b32_e32 v6, 0
	s_and_saveexec_b64 s[24:25], s[22:23]
.LBB6_949:
	v_lshrrev_b32_e32 v2, 24, v2
	s_movk_i32 s22, 0x80
	v_and_or_b32 v6, v2, s22, v3
.LBB6_950:
	s_or_b64 exec, exec, s[24:25]
.LBB6_951:
	s_or_b64 exec, exec, s[20:21]
	global_store_byte v[4:5], v6, off
.LBB6_952:
	s_mov_b64 s[22:23], 0
.LBB6_953:
	s_mov_b64 s[20:21], 0
	s_and_b64 vcc, exec, s[22:23]
	s_cbranch_vccz .LBB6_993
; %bb.954:
	s_cmp_gt_i32 s29, 22
	s_mov_b64 s[22:23], -1
	s_cbranch_scc0 .LBB6_986
; %bb.955:
	s_cmp_lt_i32 s29, 24
	s_cbranch_scc1 .LBB6_975
; %bb.956:
	s_cmp_gt_i32 s29, 24
	s_cbranch_scc0 .LBB6_964
; %bb.957:
	v_cvt_f32_f64_e32 v2, v[0:1]
	s_mov_b32 s22, 0x47800000
	v_mov_b32_e32 v6, 0x80
	v_and_b32_e32 v3, 0x7fffffff, v2
	v_cmp_gt_u32_e32 vcc, s22, v3
	s_and_saveexec_b64 s[22:23], vcc
	s_cbranch_execz .LBB6_963
; %bb.958:
	s_mov_b32 s24, 0x37ffffff
	v_cmp_lt_u32_e32 vcc, s24, v3
	s_mov_b64 s[24:25], 0
                                        ; implicit-def: $vgpr3
	s_and_saveexec_b64 s[26:27], vcc
	s_xor_b64 s[26:27], exec, s[26:27]
	s_cbranch_execz .LBB6_1176
; %bb.959:
	v_bfe_u32 v3, v2, 21, 1
	s_mov_b32 s30, 0x88fffff
	v_add3_u32 v3, v2, v3, s30
	s_mov_b64 s[24:25], exec
	v_lshrrev_b32_e32 v3, 21, v3
	s_andn2_saveexec_b64 s[26:27], s[26:27]
	s_cbranch_execnz .LBB6_1177
.LBB6_960:
	s_or_b64 exec, exec, s[26:27]
	v_mov_b32_e32 v6, 0
	s_and_saveexec_b64 s[26:27], s[24:25]
.LBB6_961:
	v_lshrrev_b32_e32 v2, 24, v2
	s_movk_i32 s24, 0x80
	v_and_or_b32 v6, v2, s24, v3
.LBB6_962:
	s_or_b64 exec, exec, s[26:27]
.LBB6_963:
	s_or_b64 exec, exec, s[22:23]
	s_mov_b64 s[22:23], 0
	global_store_byte v[4:5], v6, off
.LBB6_964:
	s_and_b64 vcc, exec, s[22:23]
	s_cbranch_vccz .LBB6_974
; %bb.965:
	v_cvt_f32_f64_e32 v2, v[0:1]
	s_mov_b32 s22, 0x43f00000
                                        ; implicit-def: $vgpr3
	v_and_b32_e32 v6, 0x7fffffff, v2
	v_cmp_gt_u32_e32 vcc, s22, v6
	s_and_saveexec_b64 s[22:23], vcc
	s_xor_b64 s[22:23], exec, s[22:23]
	s_cbranch_execz .LBB6_971
; %bb.966:
	s_mov_b32 s24, 0x3c7fffff
	v_cmp_lt_u32_e32 vcc, s24, v6
                                        ; implicit-def: $vgpr3
	s_and_saveexec_b64 s[24:25], vcc
	s_xor_b64 s[24:25], exec, s[24:25]
; %bb.967:
	v_bfe_u32 v3, v2, 20, 1
	s_mov_b32 s26, 0x407ffff
	v_add3_u32 v3, v2, v3, s26
	v_lshrrev_b32_e32 v6, 20, v3
	v_and_b32_e32 v3, 0xff00000, v3
	s_mov_b32 s26, 0x7f00000
	v_mov_b32_e32 v7, 0x7e
	v_cmp_ne_u32_e32 vcc, s26, v3
	v_cndmask_b32_e32 v3, v7, v6, vcc
; %bb.968:
	s_andn2_saveexec_b64 s[24:25], s[24:25]
; %bb.969:
	s_mov_b32 s26, 0x46800000
	v_add_f32_e64 v3, |v2|, s26
; %bb.970:
	s_or_b64 exec, exec, s[24:25]
                                        ; implicit-def: $vgpr6
.LBB6_971:
	s_andn2_saveexec_b64 s[22:23], s[22:23]
; %bb.972:
	s_mov_b32 s24, 0x7f800000
	v_mov_b32_e32 v3, 0x7e
	v_mov_b32_e32 v7, 0x7f
	v_cmp_lt_u32_e32 vcc, s24, v6
	v_cndmask_b32_e32 v3, v3, v7, vcc
; %bb.973:
	s_or_b64 exec, exec, s[22:23]
	v_lshrrev_b32_e32 v2, 24, v2
	s_movk_i32 s22, 0x80
	v_and_or_b32 v2, v2, s22, v3
	global_store_byte v[4:5], v2, off
.LBB6_974:
	s_mov_b64 s[22:23], 0
.LBB6_975:
	s_andn2_b64 vcc, exec, s[22:23]
	s_cbranch_vccnz .LBB6_985
; %bb.976:
	v_cvt_f32_f64_e32 v2, v[0:1]
	s_mov_b32 s22, 0x47800000
                                        ; implicit-def: $vgpr3
	v_and_b32_e32 v6, 0x7fffffff, v2
	v_cmp_gt_u32_e32 vcc, s22, v6
	s_and_saveexec_b64 s[22:23], vcc
	s_xor_b64 s[22:23], exec, s[22:23]
	s_cbranch_execz .LBB6_982
; %bb.977:
	s_mov_b32 s24, 0x387fffff
	v_cmp_lt_u32_e32 vcc, s24, v6
                                        ; implicit-def: $vgpr3
	s_and_saveexec_b64 s[24:25], vcc
	s_xor_b64 s[24:25], exec, s[24:25]
; %bb.978:
	v_bfe_u32 v3, v2, 21, 1
	s_mov_b32 s26, 0x80fffff
	v_add3_u32 v3, v2, v3, s26
	v_lshrrev_b32_e32 v3, 21, v3
; %bb.979:
	s_andn2_saveexec_b64 s[24:25], s[24:25]
; %bb.980:
	s_mov_b32 s26, 0x43000000
	v_add_f32_e64 v3, |v2|, s26
; %bb.981:
	s_or_b64 exec, exec, s[24:25]
                                        ; implicit-def: $vgpr6
.LBB6_982:
	s_andn2_saveexec_b64 s[22:23], s[22:23]
; %bb.983:
	s_mov_b32 s24, 0x7f800000
	v_mov_b32_e32 v3, 0x7c
	v_mov_b32_e32 v7, 0x7f
	v_cmp_lt_u32_e32 vcc, s24, v6
	v_cndmask_b32_e32 v3, v3, v7, vcc
; %bb.984:
	s_or_b64 exec, exec, s[22:23]
	v_lshrrev_b32_e32 v2, 24, v2
	s_movk_i32 s22, 0x80
	v_and_or_b32 v2, v2, s22, v3
	global_store_byte v[4:5], v2, off
.LBB6_985:
	s_mov_b64 s[22:23], 0
.LBB6_986:
	s_andn2_b64 vcc, exec, s[22:23]
	s_mov_b64 s[22:23], 0
	s_cbranch_vccnz .LBB6_994
; %bb.987:
	s_cmp_gt_i32 s29, 14
	s_mov_b64 s[24:25], -1
	s_cbranch_scc0 .LBB6_991
; %bb.988:
	s_cmp_eq_u32 s29, 15
	s_mov_b64 s[0:1], -1
	s_cbranch_scc0 .LBB6_990
; %bb.989:
	v_cvt_f32_f64_e32 v2, v[0:1]
	s_movk_i32 s0, 0x7fff
	v_mov_b32_e32 v3, 0x7fc0
	v_bfe_u32 v6, v2, 16, 1
	v_cmp_o_f32_e32 vcc, v2, v2
	v_add3_u32 v2, v2, v6, s0
	v_cndmask_b32_sdwa v2, v3, v2, vcc dst_sel:DWORD dst_unused:UNUSED_PAD src0_sel:DWORD src1_sel:WORD_1
	global_store_short v[4:5], v2, off
	s_mov_b64 s[0:1], 0
.LBB6_990:
	s_mov_b64 s[24:25], 0
.LBB6_991:
	s_and_b64 vcc, exec, s[24:25]
	s_cbranch_vccz .LBB6_994
; %bb.992:
	s_cmp_lg_u32 s29, 11
	s_cselect_b64 s[24:25], -1, 0
	s_andn2_b64 s[0:1], s[0:1], exec
	s_and_b64 s[24:25], s[24:25], exec
	s_mov_b64 s[22:23], -1
	s_or_b64 s[0:1], s[0:1], s[24:25]
	s_branch .LBB6_994
.LBB6_993:
	s_mov_b64 s[22:23], 0
.LBB6_994:
	s_andn2_b64 s[6:7], s[6:7], exec
	s_and_b64 s[0:1], s[0:1], exec
	s_and_b64 s[20:21], s[20:21], exec
	;; [unrolled: 1-line block ×3, first 2 shown]
	s_or_b64 s[6:7], s[6:7], s[0:1]
	s_or_b64 exec, exec, s[16:17]
	s_and_saveexec_b64 s[0:1], s[6:7]
	s_cbranch_execz .LBB6_923
.LBB6_995:
	s_or_b64 s[18:19], s[18:19], exec
	s_andn2_b64 s[22:23], s[22:23], exec
	s_trap 2
	s_or_b64 exec, exec, s[0:1]
	s_and_saveexec_b64 s[0:1], s[22:23]
	s_xor_b64 s[0:1], exec, s[0:1]
	s_cbranch_execnz .LBB6_924
.LBB6_996:
	s_or_b64 exec, exec, s[0:1]
	s_and_saveexec_b64 s[0:1], s[20:21]
	s_xor_b64 s[0:1], exec, s[0:1]
	s_cbranch_execz .LBB6_1034
.LBB6_997:
	s_sext_i32_i16 s16, s28
	s_cmp_lt_i32 s16, 5
	s_mov_b64 s[6:7], -1
	s_cbranch_scc1 .LBB6_1018
; %bb.998:
	s_cmp_lt_i32 s16, 8
	s_cbranch_scc1 .LBB6_1008
; %bb.999:
	s_cmp_lt_i32 s16, 9
	s_cbranch_scc1 .LBB6_1005
; %bb.1000:
	s_cmp_gt_i32 s16, 9
	s_cbranch_scc0 .LBB6_1002
; %bb.1001:
	s_waitcnt vmcnt(0)
	v_mov_b32_e32 v2, 0
	v_mov_b32_e32 v3, v2
	s_mov_b64 s[6:7], 0
	global_store_dwordx4 v[4:5], v[0:3], off
.LBB6_1002:
	s_andn2_b64 vcc, exec, s[6:7]
	s_cbranch_vccnz .LBB6_1004
; %bb.1003:
	s_waitcnt vmcnt(0)
	v_cvt_f32_f64_e32 v2, v[0:1]
	v_mov_b32_e32 v3, 0
	global_store_dwordx2 v[4:5], v[2:3], off
.LBB6_1004:
	s_mov_b64 s[6:7], 0
.LBB6_1005:
	s_andn2_b64 vcc, exec, s[6:7]
	s_cbranch_vccnz .LBB6_1007
; %bb.1006:
	s_movk_i32 s6, 0x1ff
	s_waitcnt vmcnt(0)
	v_and_or_b32 v2, v1, s6, v0
	v_cmp_ne_u32_e32 vcc, 0, v2
	v_cndmask_b32_e64 v2, 0, 1, vcc
	v_lshrrev_b32_e32 v3, 8, v1
	s_movk_i32 s6, 0xffe
	v_bfe_u32 v6, v1, 20, 11
	v_and_or_b32 v2, v3, s6, v2
	v_sub_u32_e32 v7, 0x3f1, v6
	v_or_b32_e32 v3, 0x1000, v2
	v_med3_i32 v7, v7, 0, 13
	v_lshrrev_b32_e32 v8, v7, v3
	v_lshlrev_b32_e32 v7, v7, v8
	v_cmp_ne_u32_e32 vcc, v7, v3
	v_cndmask_b32_e64 v3, 0, 1, vcc
	v_add_u32_e32 v6, 0xfffffc10, v6
	v_or_b32_e32 v3, v8, v3
	v_lshl_or_b32 v7, v6, 12, v2
	v_cmp_gt_i32_e32 vcc, 1, v6
	v_cndmask_b32_e32 v3, v7, v3, vcc
	v_and_b32_e32 v7, 7, v3
	v_cmp_lt_i32_e32 vcc, 5, v7
	v_cndmask_b32_e64 v8, 0, 1, vcc
	v_cmp_eq_u32_e32 vcc, 3, v7
	v_cndmask_b32_e64 v7, 0, 1, vcc
	v_or_b32_e32 v7, v7, v8
	v_lshrrev_b32_e32 v3, 2, v3
	v_add_u32_e32 v3, v3, v7
	v_mov_b32_e32 v7, 0x7c00
	v_cmp_gt_i32_e32 vcc, 31, v6
	v_cndmask_b32_e32 v3, v7, v3, vcc
	v_mov_b32_e32 v8, 0x7e00
	v_cmp_ne_u32_e32 vcc, 0, v2
	s_movk_i32 s6, 0x40f
	v_cndmask_b32_e32 v2, v7, v8, vcc
	v_cmp_eq_u32_e32 vcc, s6, v6
	v_cndmask_b32_e32 v2, v3, v2, vcc
	v_lshrrev_b32_e32 v3, 16, v1
	s_mov_b32 s6, 0x8000
	v_and_or_b32 v2, v3, s6, v2
	v_and_b32_e32 v2, 0xffff, v2
	global_store_dword v[4:5], v2, off
.LBB6_1007:
	s_mov_b64 s[6:7], 0
.LBB6_1008:
	s_andn2_b64 vcc, exec, s[6:7]
	s_cbranch_vccnz .LBB6_1017
; %bb.1009:
	s_sext_i32_i16 s16, s28
	s_cmp_lt_i32 s16, 6
	s_mov_b64 s[6:7], -1
	s_cbranch_scc1 .LBB6_1015
; %bb.1010:
	s_cmp_gt_i32 s16, 6
	s_cbranch_scc0 .LBB6_1012
; %bb.1011:
	s_mov_b64 s[6:7], 0
	global_store_dwordx2 v[4:5], v[0:1], off
.LBB6_1012:
	s_andn2_b64 vcc, exec, s[6:7]
	s_cbranch_vccnz .LBB6_1014
; %bb.1013:
	s_waitcnt vmcnt(0)
	v_cvt_f32_f64_e32 v2, v[0:1]
	global_store_dword v[4:5], v2, off
.LBB6_1014:
	s_mov_b64 s[6:7], 0
.LBB6_1015:
	s_andn2_b64 vcc, exec, s[6:7]
	s_cbranch_vccnz .LBB6_1017
; %bb.1016:
	s_movk_i32 s6, 0x1ff
	s_waitcnt vmcnt(0)
	v_and_or_b32 v2, v1, s6, v0
	v_cmp_ne_u32_e32 vcc, 0, v2
	v_cndmask_b32_e64 v2, 0, 1, vcc
	v_lshrrev_b32_e32 v3, 8, v1
	s_movk_i32 s6, 0xffe
	v_bfe_u32 v6, v1, 20, 11
	v_and_or_b32 v2, v3, s6, v2
	v_sub_u32_e32 v7, 0x3f1, v6
	v_or_b32_e32 v3, 0x1000, v2
	v_med3_i32 v7, v7, 0, 13
	v_lshrrev_b32_e32 v8, v7, v3
	v_lshlrev_b32_e32 v7, v7, v8
	v_cmp_ne_u32_e32 vcc, v7, v3
	v_cndmask_b32_e64 v3, 0, 1, vcc
	v_add_u32_e32 v6, 0xfffffc10, v6
	v_or_b32_e32 v3, v8, v3
	v_lshl_or_b32 v7, v6, 12, v2
	v_cmp_gt_i32_e32 vcc, 1, v6
	v_cndmask_b32_e32 v3, v7, v3, vcc
	v_and_b32_e32 v7, 7, v3
	v_cmp_lt_i32_e32 vcc, 5, v7
	v_cndmask_b32_e64 v8, 0, 1, vcc
	v_cmp_eq_u32_e32 vcc, 3, v7
	v_cndmask_b32_e64 v7, 0, 1, vcc
	v_or_b32_e32 v7, v7, v8
	v_lshrrev_b32_e32 v3, 2, v3
	v_add_u32_e32 v3, v3, v7
	v_mov_b32_e32 v7, 0x7c00
	v_cmp_gt_i32_e32 vcc, 31, v6
	v_cndmask_b32_e32 v3, v7, v3, vcc
	v_mov_b32_e32 v8, 0x7e00
	v_cmp_ne_u32_e32 vcc, 0, v2
	s_movk_i32 s6, 0x40f
	v_cndmask_b32_e32 v2, v7, v8, vcc
	v_cmp_eq_u32_e32 vcc, s6, v6
	v_cndmask_b32_e32 v2, v3, v2, vcc
	v_lshrrev_b32_e32 v3, 16, v1
	s_mov_b32 s6, 0x8000
	v_and_or_b32 v2, v3, s6, v2
	global_store_short v[4:5], v2, off
.LBB6_1017:
	s_mov_b64 s[6:7], 0
.LBB6_1018:
	s_andn2_b64 vcc, exec, s[6:7]
	s_cbranch_vccnz .LBB6_1034
; %bb.1019:
	s_sext_i32_i16 s16, s28
	s_cmp_lt_i32 s16, 2
	s_mov_b64 s[6:7], -1
	s_cbranch_scc1 .LBB6_1029
; %bb.1020:
	s_cmp_lt_i32 s16, 3
	s_cbranch_scc1 .LBB6_1026
; %bb.1021:
	s_cmp_gt_i32 s16, 3
	s_cbranch_scc0 .LBB6_1023
; %bb.1022:
	s_waitcnt vmcnt(0)
	v_trunc_f64_e32 v[2:3], v[0:1]
	s_movk_i32 s6, 0xffe0
	v_ldexp_f64 v[6:7], v[2:3], s6
	s_mov_b32 s6, 0
	s_mov_b32 s7, 0xc1f00000
	v_floor_f64_e32 v[6:7], v[6:7]
	v_fma_f64 v[2:3], v[6:7], s[6:7], v[2:3]
	v_cvt_i32_f64_e32 v7, v[6:7]
	s_mov_b64 s[6:7], 0
	v_cvt_u32_f64_e32 v6, v[2:3]
	global_store_dwordx2 v[4:5], v[6:7], off
.LBB6_1023:
	s_andn2_b64 vcc, exec, s[6:7]
	s_cbranch_vccnz .LBB6_1025
; %bb.1024:
	s_waitcnt vmcnt(0)
	v_cvt_i32_f64_e32 v2, v[0:1]
	global_store_dword v[4:5], v2, off
.LBB6_1025:
	s_mov_b64 s[6:7], 0
.LBB6_1026:
	s_andn2_b64 vcc, exec, s[6:7]
	s_cbranch_vccnz .LBB6_1028
; %bb.1027:
	s_waitcnt vmcnt(0)
	v_cvt_i32_f64_e32 v2, v[0:1]
	global_store_short v[4:5], v2, off
.LBB6_1028:
	s_mov_b64 s[6:7], 0
.LBB6_1029:
	s_andn2_b64 vcc, exec, s[6:7]
	s_cbranch_vccnz .LBB6_1034
; %bb.1030:
	s_sext_i32_i16 s6, s28
	s_cmp_gt_i32 s6, 0
	s_mov_b64 s[6:7], -1
	s_cbranch_scc0 .LBB6_1032
; %bb.1031:
	s_waitcnt vmcnt(0)
	v_cvt_i32_f64_e32 v2, v[0:1]
	s_mov_b64 s[6:7], 0
	global_store_byte v[4:5], v2, off
.LBB6_1032:
	s_andn2_b64 vcc, exec, s[6:7]
	s_cbranch_vccnz .LBB6_1034
; %bb.1033:
	v_trunc_f64_e32 v[0:1], v[0:1]
	s_movk_i32 s6, 0xffe0
	s_waitcnt vmcnt(0)
	v_ldexp_f64 v[2:3], v[0:1], s6
	s_mov_b32 s6, 0
	s_mov_b32 s7, 0xc1f00000
	v_floor_f64_e32 v[2:3], v[2:3]
	v_fma_f64 v[0:1], v[2:3], s[6:7], v[0:1]
	v_cvt_u32_f64_e32 v0, v[0:1]
	global_store_byte v[4:5], v0, off
.LBB6_1034:
	s_or_b64 exec, exec, s[0:1]
	s_and_b64 s[6:7], s[18:19], exec
                                        ; implicit-def: $vgpr10
.LBB6_1035:
	s_or_saveexec_b64 s[4:5], s[4:5]
	s_mov_b64 s[0:1], 0
                                        ; implicit-def: $sgpr20
                                        ; implicit-def: $vgpr4_vgpr5
                                        ; implicit-def: $vgpr0_vgpr1
	s_xor_b64 exec, exec, s[4:5]
	s_cbranch_execz .LBB6_1637
; %bb.1036:
	v_mul_lo_u32 v4, s13, v10
	v_mov_b32_e32 v1, s11
	s_and_b32 s24, 0xffff, s44
	s_cmp_lt_i32 s24, 11
	s_waitcnt vmcnt(0)
	v_ashrrev_i32_e32 v2, 31, v4
	v_add_co_u32_e32 v0, vcc, s10, v4
	v_addc_co_u32_e32 v1, vcc, v1, v2, vcc
	s_cbranch_scc1 .LBB6_1043
; %bb.1037:
	s_cmp_gt_i32 s24, 25
	s_cbranch_scc0 .LBB6_1045
; %bb.1038:
	s_cmp_gt_i32 s24, 28
	s_cbranch_scc0 .LBB6_1046
	;; [unrolled: 3-line block ×4, first 2 shown]
; %bb.1041:
	s_cmp_eq_u32 s24, 46
	s_mov_b64 s[16:17], 0
	s_cbranch_scc0 .LBB6_1051
; %bb.1042:
	global_load_dword v2, v[0:1], off
	s_mov_b64 s[18:19], -1
	s_waitcnt vmcnt(0)
	v_lshlrev_b32_e32 v2, 16, v2
	v_cvt_f64_f32_e32 v[2:3], v2
	s_branch .LBB6_1052
.LBB6_1043:
	s_mov_b64 s[18:19], 0
                                        ; implicit-def: $vgpr2_vgpr3
	s_mov_b64 s[16:17], s[6:7]
	s_cbranch_execnz .LBB6_1115
.LBB6_1044:
	s_andn2_b64 vcc, exec, s[18:19]
	s_cbranch_vccz .LBB6_1160
	s_branch .LBB6_1634
.LBB6_1045:
	s_mov_b64 s[18:19], 0
                                        ; implicit-def: $vgpr2_vgpr3
	s_cbranch_execnz .LBB6_1082
	s_branch .LBB6_1111
.LBB6_1046:
	s_mov_b64 s[16:17], -1
	s_mov_b64 s[18:19], 0
                                        ; implicit-def: $vgpr2_vgpr3
	s_branch .LBB6_1061
.LBB6_1047:
	s_mov_b64 s[18:19], 0
                                        ; implicit-def: $vgpr2_vgpr3
	s_cbranch_execnz .LBB6_1057
	s_branch .LBB6_1060
.LBB6_1048:
	s_mov_b64 s[16:17], -1
	s_mov_b64 s[18:19], 0
                                        ; implicit-def: $vgpr2_vgpr3
	s_branch .LBB6_1052
.LBB6_1049:
	s_andn2_saveexec_b64 s[24:25], s[24:25]
	s_cbranch_execz .LBB6_948
.LBB6_1050:
	s_mov_b32 s26, 0x46000000
	v_add_f32_e64 v3, |v2|, s26
	v_and_b32_e32 v3, 0xff, v3
	v_cmp_ne_u32_e32 vcc, 0, v3
	s_andn2_b64 s[22:23], s[22:23], exec
	s_and_b64 s[26:27], vcc, exec
	s_or_b64 s[22:23], s[22:23], s[26:27]
	s_or_b64 exec, exec, s[24:25]
	v_mov_b32_e32 v6, 0
	s_and_saveexec_b64 s[24:25], s[22:23]
	s_cbranch_execnz .LBB6_949
	s_branch .LBB6_950
.LBB6_1051:
	s_mov_b64 s[0:1], -1
                                        ; implicit-def: $vgpr2_vgpr3
	s_mov_b64 s[18:19], 0
.LBB6_1052:
	s_and_b64 vcc, exec, s[16:17]
	s_cbranch_vccz .LBB6_1055
; %bb.1053:
	s_cmp_eq_u32 s24, 44
	s_cbranch_scc0 .LBB6_1056
; %bb.1054:
	global_load_ubyte v5, v[0:1], off
	s_movk_i32 s16, 0xff
	v_bfrev_b32_e32 v6, 4
	v_mov_b32_e32 v7, 0x7ff80000
	v_bfrev_b32_e32 v8, 28
	s_mov_b64 s[0:1], 0
	s_mov_b64 s[18:19], -1
	s_waitcnt vmcnt(0)
	v_lshlrev_b32_e32 v2, 23, v5
	v_cvt_f64_f32_e32 v[2:3], v2
	v_cmp_ne_u32_e32 vcc, s16, v5
	v_cndmask_b32_e32 v2, v6, v2, vcc
	v_cndmask_b32_e32 v3, v7, v3, vcc
	v_cmp_ne_u32_e32 vcc, 0, v5
	v_cndmask_b32_e32 v3, v8, v3, vcc
	v_cndmask_b32_e32 v2, 0, v2, vcc
.LBB6_1055:
	s_branch .LBB6_1060
.LBB6_1056:
	s_mov_b64 s[0:1], -1
                                        ; implicit-def: $vgpr2_vgpr3
	s_branch .LBB6_1060
.LBB6_1057:
	s_cmp_eq_u32 s24, 29
	s_cbranch_scc0 .LBB6_1059
; %bb.1058:
	global_load_dwordx2 v[2:3], v[0:1], off
	s_mov_b64 s[0:1], 0
	s_mov_b64 s[18:19], -1
	s_mov_b64 s[16:17], 0
	s_waitcnt vmcnt(0)
	v_cvt_f64_u32_e32 v[5:6], v3
	v_cvt_f64_u32_e32 v[2:3], v2
	v_ldexp_f64 v[5:6], v[5:6], 32
	v_add_f64 v[2:3], v[5:6], v[2:3]
	s_branch .LBB6_1061
.LBB6_1059:
	s_mov_b64 s[0:1], -1
                                        ; implicit-def: $vgpr2_vgpr3
.LBB6_1060:
	s_mov_b64 s[16:17], 0
.LBB6_1061:
	s_and_b64 vcc, exec, s[16:17]
	s_cbranch_vccz .LBB6_1081
; %bb.1062:
	s_cmp_lt_i32 s24, 27
	s_cbranch_scc1 .LBB6_1065
; %bb.1063:
	s_cmp_gt_i32 s24, 27
	s_cbranch_scc0 .LBB6_1066
; %bb.1064:
	global_load_dword v2, v[0:1], off
	s_mov_b64 s[16:17], 0
	s_waitcnt vmcnt(0)
	v_cvt_f64_u32_e32 v[2:3], v2
	s_branch .LBB6_1067
.LBB6_1065:
	s_mov_b64 s[16:17], -1
                                        ; implicit-def: $vgpr2_vgpr3
	s_branch .LBB6_1070
.LBB6_1066:
	s_mov_b64 s[16:17], -1
                                        ; implicit-def: $vgpr2_vgpr3
.LBB6_1067:
	s_andn2_b64 vcc, exec, s[16:17]
	s_cbranch_vccnz .LBB6_1069
; %bb.1068:
	global_load_ushort v2, v[0:1], off
	s_waitcnt vmcnt(0)
	v_cvt_f64_u32_e32 v[2:3], v2
.LBB6_1069:
	s_mov_b64 s[16:17], 0
.LBB6_1070:
	s_andn2_b64 vcc, exec, s[16:17]
	s_cbranch_vccnz .LBB6_1080
; %bb.1071:
	global_load_ubyte v5, v[0:1], off
	s_movk_i32 s16, 0x7f
	s_waitcnt vmcnt(0)
	v_cmp_lt_i16_e32 vcc, s16, v5
	s_mov_b64 s[16:17], 0
	s_and_saveexec_b64 s[18:19], vcc
	s_xor_b64 s[18:19], exec, s[18:19]
	s_cbranch_execz .LBB6_1075
; %bb.1072:
	s_movk_i32 s16, 0x80
	v_cmp_eq_u16_e32 vcc, s16, v5
	s_mov_b64 s[16:17], -1
	s_and_saveexec_b64 s[20:21], vcc
; %bb.1073:
	s_xor_b64 s[16:17], exec, -1
; %bb.1074:
	s_or_b64 exec, exec, s[20:21]
	s_and_b64 s[16:17], s[16:17], exec
.LBB6_1075:
	s_or_saveexec_b64 s[18:19], s[18:19]
	v_bfrev_b32_e32 v2, 4
	v_mov_b32_e32 v3, 0x7ff80000
	s_xor_b64 exec, exec, s[18:19]
; %bb.1076:
	v_cmp_ne_u16_e32 vcc, 0, v5
	v_mov_b32_e32 v2, 0
	s_andn2_b64 s[16:17], s[16:17], exec
	s_and_b64 s[20:21], vcc, exec
	v_mov_b32_e32 v3, 0
	s_or_b64 s[16:17], s[16:17], s[20:21]
; %bb.1077:
	s_or_b64 exec, exec, s[18:19]
	s_and_saveexec_b64 s[18:19], s[16:17]
	s_cbranch_execz .LBB6_1079
; %bb.1078:
	v_and_b32_e32 v3, 0xffff, v5
	v_lshlrev_b32_e32 v2, 24, v5
	v_and_b32_e32 v5, 7, v3
	v_ffbh_u32_e32 v7, v5
	v_min_u32_e32 v7, 32, v7
	v_subrev_u32_e32 v8, 28, v7
	v_bfe_u32 v6, v3, 3, 4
	v_lshlrev_b32_e32 v3, v8, v3
	v_sub_u32_e32 v7, 29, v7
	v_and_b32_e32 v3, 7, v3
	v_cmp_eq_u32_e32 vcc, 0, v6
	v_cndmask_b32_e32 v6, v6, v7, vcc
	v_cndmask_b32_e32 v3, v5, v3, vcc
	v_mov_b32_e32 v5, 0x3b800000
	v_lshlrev_b32_e32 v3, 20, v3
	v_and_b32_e32 v2, 0x80000000, v2
	v_lshl_add_u32 v5, v6, 23, v5
	v_or3_b32 v2, v2, v5, v3
	v_cvt_f64_f32_e32 v[2:3], v2
.LBB6_1079:
	s_or_b64 exec, exec, s[18:19]
.LBB6_1080:
	s_mov_b64 s[18:19], -1
.LBB6_1081:
	s_branch .LBB6_1111
.LBB6_1082:
	s_cmp_gt_i32 s24, 22
	s_cbranch_scc0 .LBB6_1094
; %bb.1083:
	s_cmp_lt_i32 s24, 24
	s_cbranch_scc1 .LBB6_1095
; %bb.1084:
	s_cmp_gt_i32 s24, 24
	s_cbranch_scc0 .LBB6_1096
; %bb.1085:
	global_load_ubyte v5, v[0:1], off
	s_movk_i32 s2, 0x7f
	s_waitcnt vmcnt(0)
	v_cmp_lt_i16_e32 vcc, s2, v5
	s_mov_b64 s[2:3], 0
	s_and_saveexec_b64 s[16:17], vcc
	s_xor_b64 s[16:17], exec, s[16:17]
	s_cbranch_execz .LBB6_1089
; %bb.1086:
	s_movk_i32 s2, 0x80
	v_cmp_eq_u16_e32 vcc, s2, v5
	s_mov_b64 s[2:3], -1
	s_and_saveexec_b64 s[18:19], vcc
; %bb.1087:
	s_xor_b64 s[2:3], exec, -1
; %bb.1088:
	s_or_b64 exec, exec, s[18:19]
	s_and_b64 s[2:3], s[2:3], exec
.LBB6_1089:
	s_or_saveexec_b64 s[16:17], s[16:17]
	v_bfrev_b32_e32 v2, 4
	v_mov_b32_e32 v3, 0x7ff80000
	s_xor_b64 exec, exec, s[16:17]
; %bb.1090:
	v_cmp_ne_u16_e32 vcc, 0, v5
	v_mov_b32_e32 v2, 0
	s_andn2_b64 s[2:3], s[2:3], exec
	s_and_b64 s[18:19], vcc, exec
	v_mov_b32_e32 v3, 0
	s_or_b64 s[2:3], s[2:3], s[18:19]
; %bb.1091:
	s_or_b64 exec, exec, s[16:17]
	s_and_saveexec_b64 s[16:17], s[2:3]
	s_cbranch_execz .LBB6_1093
; %bb.1092:
	v_and_b32_e32 v3, 0xffff, v5
	v_lshlrev_b32_e32 v2, 24, v5
	v_and_b32_e32 v5, 3, v3
	v_ffbh_u32_e32 v7, v5
	v_min_u32_e32 v7, 32, v7
	v_subrev_u32_e32 v8, 29, v7
	v_bfe_u32 v6, v3, 2, 5
	v_lshlrev_b32_e32 v3, v8, v3
	v_sub_u32_e32 v7, 30, v7
	v_and_b32_e32 v3, 3, v3
	v_cmp_eq_u32_e32 vcc, 0, v6
	v_cndmask_b32_e32 v6, v6, v7, vcc
	v_cndmask_b32_e32 v3, v5, v3, vcc
	v_mov_b32_e32 v5, 0x37800000
	v_lshlrev_b32_e32 v3, 21, v3
	v_and_b32_e32 v2, 0x80000000, v2
	v_lshl_add_u32 v5, v6, 23, v5
	v_or3_b32 v2, v2, v5, v3
	v_cvt_f64_f32_e32 v[2:3], v2
.LBB6_1093:
	s_or_b64 exec, exec, s[16:17]
	s_mov_b64 s[2:3], 0
	s_branch .LBB6_1097
.LBB6_1094:
                                        ; implicit-def: $vgpr2_vgpr3
	s_mov_b64 s[2:3], 0
	s_branch .LBB6_1103
.LBB6_1095:
	s_mov_b64 s[2:3], -1
                                        ; implicit-def: $vgpr2_vgpr3
	s_branch .LBB6_1100
.LBB6_1096:
	s_mov_b64 s[2:3], -1
                                        ; implicit-def: $vgpr2_vgpr3
.LBB6_1097:
	s_and_b64 vcc, exec, s[2:3]
	s_cbranch_vccz .LBB6_1099
; %bb.1098:
	global_load_ubyte v2, v[0:1], off
	s_mov_b32 s2, 0x7f800000
	s_waitcnt vmcnt(0)
	v_lshlrev_b32_e32 v2, 24, v2
	v_and_b32_e32 v3, 0x7f000000, v2
	v_ffbh_u32_e32 v5, v3
	v_min_u32_e32 v5, 32, v5
	v_sub_u32_e64 v5, v5, 4 clamp
	v_lshlrev_b32_e32 v7, v5, v3
	v_lshlrev_b32_e32 v5, 23, v5
	v_lshrrev_b32_e32 v7, 4, v7
	v_add_u32_e32 v6, 0x1000000, v3
	v_sub_u32_e32 v5, v7, v5
	v_ashrrev_i32_e32 v6, 8, v6
	v_add_u32_e32 v5, 0x3c000000, v5
	v_and_or_b32 v5, v6, s2, v5
	v_cmp_ne_u32_e32 vcc, 0, v3
	v_cndmask_b32_e32 v3, 0, v5, vcc
	s_brev_b32 s2, 1
	v_and_or_b32 v2, v2, s2, v3
	v_cvt_f64_f32_e32 v[2:3], v2
.LBB6_1099:
	s_mov_b64 s[2:3], 0
.LBB6_1100:
	s_andn2_b64 vcc, exec, s[2:3]
	s_cbranch_vccnz .LBB6_1102
; %bb.1101:
	global_load_ubyte v2, v[0:1], off
	s_movk_i32 s2, 0x7f00
	s_brev_b32 s3, 16
	s_waitcnt vmcnt(0)
	v_lshlrev_b16_e32 v3, 8, v2
	v_lshlrev_b32_e32 v2, 25, v2
	v_lshrrev_b32_e32 v5, 4, v2
	v_and_or_b32 v6, v3, s2, 0.5
	v_or_b32_e32 v5, 0x70000000, v5
	v_add_f32_e32 v6, -0.5, v6
	v_mul_f32_e32 v5, 0x7800000, v5
	v_cmp_gt_u32_e32 vcc, s3, v2
	v_bfe_i32 v3, v3, 0, 16
	v_cndmask_b32_e32 v2, v5, v6, vcc
	s_brev_b32 s2, 1
	v_and_or_b32 v2, v3, s2, v2
	v_cvt_f64_f32_e32 v[2:3], v2
.LBB6_1102:
	s_mov_b64 s[18:19], -1
	s_mov_b64 s[2:3], 0
	s_cbranch_execnz .LBB6_1111
.LBB6_1103:
	s_cmp_gt_i32 s24, 14
	s_cbranch_scc0 .LBB6_1106
; %bb.1104:
	s_cmp_eq_u32 s24, 15
	s_cbranch_scc0 .LBB6_1107
; %bb.1105:
	global_load_ushort v2, v[0:1], off
	s_mov_b64 s[0:1], 0
	s_mov_b64 s[18:19], -1
	s_waitcnt vmcnt(0)
	v_lshlrev_b32_e32 v2, 16, v2
	v_cvt_f64_f32_e32 v[2:3], v2
	s_branch .LBB6_1108
.LBB6_1106:
	s_mov_b64 s[16:17], -1
                                        ; implicit-def: $vgpr2_vgpr3
	s_branch .LBB6_1109
.LBB6_1107:
	s_mov_b64 s[0:1], -1
                                        ; implicit-def: $vgpr2_vgpr3
.LBB6_1108:
	s_mov_b64 s[16:17], 0
.LBB6_1109:
	s_and_b64 vcc, exec, s[16:17]
	s_cbranch_vccz .LBB6_1111
; %bb.1110:
	s_cmp_lg_u32 s24, 11
	s_mov_b64 s[2:3], -1
	s_cselect_b64 s[0:1], -1, 0
.LBB6_1111:
	s_and_b64 vcc, exec, s[0:1]
	s_mov_b64 s[16:17], s[6:7]
	s_cbranch_vccnz .LBB6_1174
; %bb.1112:
	s_andn2_b64 vcc, exec, s[2:3]
	s_cbranch_vccnz .LBB6_1114
.LBB6_1113:
	global_load_ubyte v3, v[0:1], off
	v_mov_b32_e32 v5, 0x3ff00000
	v_mov_b32_e32 v2, 0
	s_mov_b64 s[18:19], -1
	s_waitcnt vmcnt(0)
	v_cmp_ne_u16_e32 vcc, 0, v3
	v_cndmask_b32_e32 v3, 0, v5, vcc
.LBB6_1114:
	s_branch .LBB6_1044
.LBB6_1115:
	s_cmp_lt_i32 s24, 5
	s_cbranch_scc1 .LBB6_1120
; %bb.1116:
	s_cmp_lt_i32 s24, 8
	s_cbranch_scc1 .LBB6_1121
; %bb.1117:
	;; [unrolled: 3-line block ×3, first 2 shown]
	s_cmp_gt_i32 s24, 9
	s_cbranch_scc0 .LBB6_1123
; %bb.1119:
	global_load_dwordx2 v[2:3], v[0:1], off
	s_mov_b64 s[0:1], 0
	s_branch .LBB6_1124
.LBB6_1120:
                                        ; implicit-def: $vgpr2_vgpr3
	s_branch .LBB6_1141
.LBB6_1121:
                                        ; implicit-def: $vgpr2_vgpr3
	s_branch .LBB6_1130
.LBB6_1122:
	s_mov_b64 s[0:1], -1
                                        ; implicit-def: $vgpr2_vgpr3
	s_branch .LBB6_1127
.LBB6_1123:
	s_mov_b64 s[0:1], -1
                                        ; implicit-def: $vgpr2_vgpr3
.LBB6_1124:
	s_andn2_b64 vcc, exec, s[0:1]
	s_cbranch_vccnz .LBB6_1126
; %bb.1125:
	global_load_dword v2, v[0:1], off
	s_waitcnt vmcnt(0)
	v_cvt_f64_f32_e32 v[2:3], v2
.LBB6_1126:
	s_mov_b64 s[0:1], 0
.LBB6_1127:
	s_andn2_b64 vcc, exec, s[0:1]
	s_cbranch_vccnz .LBB6_1129
; %bb.1128:
	global_load_dword v2, v[0:1], off
	s_waitcnt vmcnt(0)
	v_cvt_f32_f16_e32 v2, v2
	v_cvt_f64_f32_e32 v[2:3], v2
.LBB6_1129:
	s_cbranch_execnz .LBB6_1140
.LBB6_1130:
	s_cmp_lt_i32 s24, 6
	s_cbranch_scc1 .LBB6_1133
; %bb.1131:
	s_cmp_gt_i32 s24, 6
	s_cbranch_scc0 .LBB6_1134
; %bb.1132:
	global_load_dwordx2 v[2:3], v[0:1], off
	s_mov_b64 s[0:1], 0
	s_branch .LBB6_1135
.LBB6_1133:
	s_mov_b64 s[0:1], -1
                                        ; implicit-def: $vgpr2_vgpr3
	s_branch .LBB6_1138
.LBB6_1134:
	s_mov_b64 s[0:1], -1
                                        ; implicit-def: $vgpr2_vgpr3
.LBB6_1135:
	s_andn2_b64 vcc, exec, s[0:1]
	s_cbranch_vccnz .LBB6_1137
; %bb.1136:
	global_load_dword v2, v[0:1], off
	s_waitcnt vmcnt(0)
	v_cvt_f64_f32_e32 v[2:3], v2
.LBB6_1137:
	s_mov_b64 s[0:1], 0
.LBB6_1138:
	s_andn2_b64 vcc, exec, s[0:1]
	s_cbranch_vccnz .LBB6_1140
; %bb.1139:
	global_load_ushort v2, v[0:1], off
	s_waitcnt vmcnt(0)
	v_cvt_f32_f16_e32 v2, v2
	v_cvt_f64_f32_e32 v[2:3], v2
.LBB6_1140:
	s_cbranch_execnz .LBB6_1159
.LBB6_1141:
	s_cmp_lt_i32 s24, 2
	s_cbranch_scc1 .LBB6_1145
; %bb.1142:
	s_cmp_lt_i32 s24, 3
	s_cbranch_scc1 .LBB6_1146
; %bb.1143:
	s_cmp_gt_i32 s24, 3
	s_cbranch_scc0 .LBB6_1147
; %bb.1144:
	global_load_dwordx2 v[2:3], v[0:1], off
	s_mov_b64 s[0:1], 0
	s_waitcnt vmcnt(0)
	v_cvt_f64_i32_e32 v[5:6], v3
	v_cvt_f64_u32_e32 v[2:3], v2
	v_ldexp_f64 v[5:6], v[5:6], 32
	v_add_f64 v[2:3], v[5:6], v[2:3]
	s_branch .LBB6_1148
.LBB6_1145:
                                        ; implicit-def: $vgpr2_vgpr3
	s_branch .LBB6_1154
.LBB6_1146:
	s_mov_b64 s[0:1], -1
                                        ; implicit-def: $vgpr2_vgpr3
	s_branch .LBB6_1151
.LBB6_1147:
	s_mov_b64 s[0:1], -1
                                        ; implicit-def: $vgpr2_vgpr3
.LBB6_1148:
	s_andn2_b64 vcc, exec, s[0:1]
	s_cbranch_vccnz .LBB6_1150
; %bb.1149:
	global_load_dword v2, v[0:1], off
	s_waitcnt vmcnt(0)
	v_cvt_f64_i32_e32 v[2:3], v2
.LBB6_1150:
	s_mov_b64 s[0:1], 0
.LBB6_1151:
	s_andn2_b64 vcc, exec, s[0:1]
	s_cbranch_vccnz .LBB6_1153
; %bb.1152:
	global_load_sshort v2, v[0:1], off
	s_waitcnt vmcnt(0)
	v_cvt_f64_i32_e32 v[2:3], v2
.LBB6_1153:
	s_cbranch_execnz .LBB6_1159
.LBB6_1154:
	s_cmp_gt_i32 s24, 0
	s_cbranch_scc0 .LBB6_1156
; %bb.1155:
	global_load_sbyte v2, v[0:1], off
	s_mov_b64 s[0:1], 0
	s_waitcnt vmcnt(0)
	v_cvt_f64_i32_e32 v[2:3], v2
	s_branch .LBB6_1157
.LBB6_1156:
	s_mov_b64 s[0:1], -1
                                        ; implicit-def: $vgpr2_vgpr3
.LBB6_1157:
	s_andn2_b64 vcc, exec, s[0:1]
	s_cbranch_vccnz .LBB6_1159
; %bb.1158:
	global_load_ubyte v0, v[0:1], off
	s_waitcnt vmcnt(0)
	v_cvt_f64_u32_e32 v[2:3], v0
.LBB6_1159:
.LBB6_1160:
	s_waitcnt vmcnt(0)
	v_cmp_lt_f64_e32 vcc, s[14:15], v[2:3]
	v_mov_b32_e32 v6, 0
	v_mov_b32_e32 v7, 0x3ff00000
	s_and_saveexec_b64 s[0:1], vcc
	s_cbranch_execz .LBB6_1162
; %bb.1161:
	s_mov_b32 s2, 0x9abcaf48
	s_mov_b32 s3, 0x3e7ad7f2
	v_add_f64 v[0:1], v[2:3], s[2:3]
	v_div_scale_f64 v[2:3], s[2:3], v[0:1], v[0:1], s[14:15]
	v_div_scale_f64 v[11:12], vcc, s[14:15], v[0:1], s[14:15]
	v_rcp_f64_e32 v[5:6], v[2:3]
	v_fma_f64 v[7:8], -v[2:3], v[5:6], 1.0
	v_fma_f64 v[5:6], v[5:6], v[7:8], v[5:6]
	v_fma_f64 v[7:8], -v[2:3], v[5:6], 1.0
	v_fma_f64 v[5:6], v[5:6], v[7:8], v[5:6]
	v_mul_f64 v[7:8], v[11:12], v[5:6]
	v_fma_f64 v[2:3], -v[2:3], v[7:8], v[11:12]
	v_div_fmas_f64 v[2:3], v[2:3], v[5:6], v[7:8]
	v_div_fixup_f64 v[6:7], v[2:3], v[0:1], s[14:15]
.LBB6_1162:
	s_or_b64 exec, exec, s[0:1]
	s_lshl_b32 s13, s13, 7
	v_add_u32_e32 v8, s13, v4
	v_ashrrev_i32_e32 v1, 31, v8
	v_mov_b32_e32 v2, s11
	v_add_co_u32_e32 v0, vcc, s10, v8
	s_cmp_lt_i32 s24, 11
	v_addc_co_u32_e32 v1, vcc, v2, v1, vcc
	s_cbranch_scc1 .LBB6_1169
; %bb.1163:
	s_cmp_gt_i32 s24, 25
	s_mov_b64 s[2:3], 0
	s_cbranch_scc0 .LBB6_1171
; %bb.1164:
	s_cmp_gt_i32 s24, 28
	s_cbranch_scc0 .LBB6_1172
; %bb.1165:
	s_cmp_gt_i32 s24, 43
	;; [unrolled: 3-line block ×3, first 2 shown]
	s_cbranch_scc0 .LBB6_1175
; %bb.1167:
	s_cmp_eq_u32 s24, 46
	s_mov_b64 s[20:21], 0
	s_cbranch_scc0 .LBB6_1178
; %bb.1168:
	global_load_dword v2, v[0:1], off
	s_mov_b64 s[0:1], 0
	s_mov_b64 s[18:19], -1
	s_waitcnt vmcnt(0)
	v_lshlrev_b32_e32 v2, 16, v2
	v_cvt_f64_f32_e32 v[2:3], v2
	s_branch .LBB6_1179
.LBB6_1169:
	s_mov_b64 s[18:19], 0
                                        ; implicit-def: $vgpr2_vgpr3
	s_cbranch_execnz .LBB6_1244
.LBB6_1170:
	s_andn2_b64 vcc, exec, s[18:19]
	s_cbranch_vccnz .LBB6_1634
	s_branch .LBB6_1291
.LBB6_1171:
	s_mov_b64 s[18:19], 0
	s_mov_b64 s[0:1], 0
                                        ; implicit-def: $vgpr2_vgpr3
	s_cbranch_execnz .LBB6_1210
	s_branch .LBB6_1240
.LBB6_1172:
	s_mov_b64 s[20:21], -1
	s_mov_b64 s[18:19], 0
	s_mov_b64 s[0:1], 0
                                        ; implicit-def: $vgpr2_vgpr3
	s_branch .LBB6_1189
.LBB6_1173:
	s_mov_b64 s[20:21], -1
	s_mov_b64 s[18:19], 0
	s_mov_b64 s[0:1], 0
                                        ; implicit-def: $vgpr2_vgpr3
	s_branch .LBB6_1184
.LBB6_1174:
	s_or_b64 s[16:17], s[6:7], exec
	s_trap 2
	s_cbranch_execz .LBB6_1113
	s_branch .LBB6_1114
.LBB6_1175:
	s_mov_b64 s[20:21], -1
	s_mov_b64 s[18:19], 0
	s_mov_b64 s[0:1], 0
                                        ; implicit-def: $vgpr2_vgpr3
	s_branch .LBB6_1179
.LBB6_1176:
	s_andn2_saveexec_b64 s[26:27], s[26:27]
	s_cbranch_execz .LBB6_960
.LBB6_1177:
	s_mov_b32 s30, 0x42800000
	v_add_f32_e64 v3, |v2|, s30
	v_and_b32_e32 v3, 0xff, v3
	v_cmp_ne_u32_e32 vcc, 0, v3
	s_andn2_b64 s[24:25], s[24:25], exec
	s_and_b64 s[30:31], vcc, exec
	s_or_b64 s[24:25], s[24:25], s[30:31]
	s_or_b64 exec, exec, s[26:27]
	v_mov_b32_e32 v6, 0
	s_and_saveexec_b64 s[26:27], s[24:25]
	s_cbranch_execnz .LBB6_961
	s_branch .LBB6_962
.LBB6_1178:
	s_mov_b64 s[0:1], -1
                                        ; implicit-def: $vgpr2_vgpr3
	s_mov_b64 s[18:19], 0
.LBB6_1179:
	s_and_b64 vcc, exec, s[20:21]
	s_cbranch_vccz .LBB6_1183
; %bb.1180:
	s_cmp_eq_u32 s24, 44
	s_cbranch_scc0 .LBB6_1182
; %bb.1181:
	global_load_ubyte v4, v[0:1], off
	s_movk_i32 s18, 0xff
	v_bfrev_b32_e32 v5, 4
	v_mov_b32_e32 v9, 0x7ff80000
	v_bfrev_b32_e32 v11, 28
	s_mov_b64 s[0:1], 0
	s_waitcnt vmcnt(0)
	v_lshlrev_b32_e32 v2, 23, v4
	v_cvt_f64_f32_e32 v[2:3], v2
	v_cmp_ne_u32_e32 vcc, s18, v4
	s_mov_b64 s[18:19], -1
	v_cndmask_b32_e32 v2, v5, v2, vcc
	v_cndmask_b32_e32 v3, v9, v3, vcc
	v_cmp_ne_u32_e32 vcc, 0, v4
	v_cndmask_b32_e32 v3, v11, v3, vcc
	v_cndmask_b32_e32 v2, 0, v2, vcc
	s_branch .LBB6_1183
.LBB6_1182:
	s_mov_b64 s[0:1], -1
                                        ; implicit-def: $vgpr2_vgpr3
.LBB6_1183:
	s_mov_b64 s[20:21], 0
.LBB6_1184:
	s_and_b64 vcc, exec, s[20:21]
	s_cbranch_vccz .LBB6_1188
; %bb.1185:
	s_cmp_eq_u32 s24, 29
	s_cbranch_scc0 .LBB6_1187
; %bb.1186:
	global_load_dwordx2 v[2:3], v[0:1], off
	s_mov_b64 s[0:1], 0
	s_mov_b64 s[18:19], -1
	s_mov_b64 s[20:21], 0
	s_waitcnt vmcnt(0)
	v_cvt_f64_u32_e32 v[3:4], v3
	v_cvt_f64_u32_e32 v[11:12], v2
	v_ldexp_f64 v[3:4], v[3:4], 32
	v_add_f64 v[2:3], v[3:4], v[11:12]
	s_branch .LBB6_1189
.LBB6_1187:
	s_mov_b64 s[0:1], -1
                                        ; implicit-def: $vgpr2_vgpr3
.LBB6_1188:
	s_mov_b64 s[20:21], 0
.LBB6_1189:
	s_and_b64 vcc, exec, s[20:21]
	s_cbranch_vccz .LBB6_1209
; %bb.1190:
	s_cmp_lt_i32 s24, 27
	s_cbranch_scc1 .LBB6_1193
; %bb.1191:
	s_cmp_gt_i32 s24, 27
	s_cbranch_scc0 .LBB6_1194
; %bb.1192:
	global_load_dword v2, v[0:1], off
	s_mov_b64 s[18:19], 0
	s_waitcnt vmcnt(0)
	v_cvt_f64_u32_e32 v[2:3], v2
	s_branch .LBB6_1195
.LBB6_1193:
	s_mov_b64 s[18:19], -1
                                        ; implicit-def: $vgpr2_vgpr3
	s_branch .LBB6_1198
.LBB6_1194:
	s_mov_b64 s[18:19], -1
                                        ; implicit-def: $vgpr2_vgpr3
.LBB6_1195:
	s_andn2_b64 vcc, exec, s[18:19]
	s_cbranch_vccnz .LBB6_1197
; %bb.1196:
	global_load_ushort v2, v[0:1], off
	s_waitcnt vmcnt(0)
	v_cvt_f64_u32_e32 v[2:3], v2
.LBB6_1197:
	s_mov_b64 s[18:19], 0
.LBB6_1198:
	s_andn2_b64 vcc, exec, s[18:19]
	s_cbranch_vccnz .LBB6_1208
; %bb.1199:
	global_load_ubyte v4, v[0:1], off
	s_movk_i32 s18, 0x7f
	s_waitcnt vmcnt(0)
	v_cmp_lt_i16_e32 vcc, s18, v4
	s_mov_b64 s[18:19], 0
	s_and_saveexec_b64 s[20:21], vcc
	s_xor_b64 s[20:21], exec, s[20:21]
	s_cbranch_execz .LBB6_1203
; %bb.1200:
	s_movk_i32 s18, 0x80
	v_cmp_eq_u16_e32 vcc, s18, v4
	s_mov_b64 s[18:19], -1
	s_and_saveexec_b64 s[22:23], vcc
; %bb.1201:
	s_xor_b64 s[18:19], exec, -1
; %bb.1202:
	s_or_b64 exec, exec, s[22:23]
	s_and_b64 s[18:19], s[18:19], exec
.LBB6_1203:
	s_or_saveexec_b64 s[20:21], s[20:21]
	v_bfrev_b32_e32 v2, 4
	v_mov_b32_e32 v3, 0x7ff80000
	s_xor_b64 exec, exec, s[20:21]
; %bb.1204:
	v_cmp_ne_u16_e32 vcc, 0, v4
	v_mov_b32_e32 v2, 0
	s_andn2_b64 s[18:19], s[18:19], exec
	s_and_b64 s[22:23], vcc, exec
	v_mov_b32_e32 v3, 0
	s_or_b64 s[18:19], s[18:19], s[22:23]
; %bb.1205:
	s_or_b64 exec, exec, s[20:21]
	s_and_saveexec_b64 s[20:21], s[18:19]
	s_cbranch_execz .LBB6_1207
; %bb.1206:
	v_and_b32_e32 v3, 0xffff, v4
	v_lshlrev_b32_e32 v2, 24, v4
	v_and_b32_e32 v4, 7, v3
	v_ffbh_u32_e32 v9, v4
	v_min_u32_e32 v9, 32, v9
	v_subrev_u32_e32 v11, 28, v9
	v_bfe_u32 v5, v3, 3, 4
	v_lshlrev_b32_e32 v3, v11, v3
	v_sub_u32_e32 v9, 29, v9
	v_and_b32_e32 v3, 7, v3
	v_cmp_eq_u32_e32 vcc, 0, v5
	v_cndmask_b32_e32 v5, v5, v9, vcc
	v_cndmask_b32_e32 v3, v4, v3, vcc
	v_mov_b32_e32 v4, 0x3b800000
	v_lshlrev_b32_e32 v3, 20, v3
	v_and_b32_e32 v2, 0x80000000, v2
	v_lshl_add_u32 v4, v5, 23, v4
	v_or3_b32 v2, v2, v4, v3
	v_cvt_f64_f32_e32 v[2:3], v2
.LBB6_1207:
	s_or_b64 exec, exec, s[20:21]
.LBB6_1208:
	s_mov_b64 s[18:19], -1
.LBB6_1209:
	s_branch .LBB6_1240
.LBB6_1210:
	s_cmp_gt_i32 s24, 22
	s_cbranch_scc0 .LBB6_1222
; %bb.1211:
	s_cmp_lt_i32 s24, 24
	s_cbranch_scc1 .LBB6_1223
; %bb.1212:
	s_cmp_gt_i32 s24, 24
	s_cbranch_scc0 .LBB6_1224
; %bb.1213:
	global_load_ubyte v4, v[0:1], off
	s_movk_i32 s2, 0x7f
	s_waitcnt vmcnt(0)
	v_cmp_lt_i16_e32 vcc, s2, v4
	s_mov_b64 s[2:3], 0
	s_and_saveexec_b64 s[18:19], vcc
	s_xor_b64 s[18:19], exec, s[18:19]
	s_cbranch_execz .LBB6_1217
; %bb.1214:
	s_movk_i32 s2, 0x80
	v_cmp_eq_u16_e32 vcc, s2, v4
	s_mov_b64 s[2:3], -1
	s_and_saveexec_b64 s[20:21], vcc
; %bb.1215:
	s_xor_b64 s[2:3], exec, -1
; %bb.1216:
	s_or_b64 exec, exec, s[20:21]
	s_and_b64 s[2:3], s[2:3], exec
.LBB6_1217:
	s_or_saveexec_b64 s[18:19], s[18:19]
	v_bfrev_b32_e32 v2, 4
	v_mov_b32_e32 v3, 0x7ff80000
	s_xor_b64 exec, exec, s[18:19]
; %bb.1218:
	v_cmp_ne_u16_e32 vcc, 0, v4
	v_mov_b32_e32 v2, 0
	s_andn2_b64 s[2:3], s[2:3], exec
	s_and_b64 s[20:21], vcc, exec
	v_mov_b32_e32 v3, 0
	s_or_b64 s[2:3], s[2:3], s[20:21]
; %bb.1219:
	s_or_b64 exec, exec, s[18:19]
	s_and_saveexec_b64 s[18:19], s[2:3]
	s_cbranch_execz .LBB6_1221
; %bb.1220:
	v_and_b32_e32 v3, 0xffff, v4
	v_lshlrev_b32_e32 v2, 24, v4
	v_and_b32_e32 v4, 3, v3
	v_ffbh_u32_e32 v9, v4
	v_min_u32_e32 v9, 32, v9
	v_subrev_u32_e32 v11, 29, v9
	v_bfe_u32 v5, v3, 2, 5
	v_lshlrev_b32_e32 v3, v11, v3
	v_sub_u32_e32 v9, 30, v9
	v_and_b32_e32 v3, 3, v3
	v_cmp_eq_u32_e32 vcc, 0, v5
	v_cndmask_b32_e32 v5, v5, v9, vcc
	v_cndmask_b32_e32 v3, v4, v3, vcc
	v_mov_b32_e32 v4, 0x37800000
	v_lshlrev_b32_e32 v3, 21, v3
	v_and_b32_e32 v2, 0x80000000, v2
	v_lshl_add_u32 v4, v5, 23, v4
	v_or3_b32 v2, v2, v4, v3
	v_cvt_f64_f32_e32 v[2:3], v2
.LBB6_1221:
	s_or_b64 exec, exec, s[18:19]
	s_mov_b64 s[2:3], 0
	s_branch .LBB6_1225
.LBB6_1222:
	s_mov_b64 s[2:3], -1
                                        ; implicit-def: $vgpr2_vgpr3
	s_branch .LBB6_1231
.LBB6_1223:
	s_mov_b64 s[2:3], -1
                                        ; implicit-def: $vgpr2_vgpr3
	s_branch .LBB6_1228
.LBB6_1224:
	s_mov_b64 s[2:3], -1
                                        ; implicit-def: $vgpr2_vgpr3
.LBB6_1225:
	s_and_b64 vcc, exec, s[2:3]
	s_cbranch_vccz .LBB6_1227
; %bb.1226:
	global_load_ubyte v2, v[0:1], off
	s_mov_b32 s2, 0x7f800000
	s_waitcnt vmcnt(0)
	v_lshlrev_b32_e32 v2, 24, v2
	v_and_b32_e32 v3, 0x7f000000, v2
	v_ffbh_u32_e32 v4, v3
	v_min_u32_e32 v4, 32, v4
	v_sub_u32_e64 v4, v4, 4 clamp
	v_lshlrev_b32_e32 v9, v4, v3
	v_lshlrev_b32_e32 v4, 23, v4
	v_lshrrev_b32_e32 v9, 4, v9
	v_add_u32_e32 v5, 0x1000000, v3
	v_sub_u32_e32 v4, v9, v4
	v_ashrrev_i32_e32 v5, 8, v5
	v_add_u32_e32 v4, 0x3c000000, v4
	v_and_or_b32 v4, v5, s2, v4
	v_cmp_ne_u32_e32 vcc, 0, v3
	v_cndmask_b32_e32 v3, 0, v4, vcc
	s_brev_b32 s2, 1
	v_and_or_b32 v2, v2, s2, v3
	v_cvt_f64_f32_e32 v[2:3], v2
.LBB6_1227:
	s_mov_b64 s[2:3], 0
.LBB6_1228:
	s_andn2_b64 vcc, exec, s[2:3]
	s_cbranch_vccnz .LBB6_1230
; %bb.1229:
	global_load_ubyte v2, v[0:1], off
	s_movk_i32 s2, 0x7f00
	s_brev_b32 s3, 16
	s_waitcnt vmcnt(0)
	v_lshlrev_b16_e32 v3, 8, v2
	v_lshlrev_b32_e32 v2, 25, v2
	v_lshrrev_b32_e32 v4, 4, v2
	v_and_or_b32 v5, v3, s2, 0.5
	v_or_b32_e32 v4, 0x70000000, v4
	v_add_f32_e32 v5, -0.5, v5
	v_mul_f32_e32 v4, 0x7800000, v4
	v_cmp_gt_u32_e32 vcc, s3, v2
	v_bfe_i32 v3, v3, 0, 16
	v_cndmask_b32_e32 v2, v4, v5, vcc
	s_brev_b32 s2, 1
	v_and_or_b32 v2, v3, s2, v2
	v_cvt_f64_f32_e32 v[2:3], v2
.LBB6_1230:
	s_mov_b64 s[2:3], 0
	s_mov_b64 s[18:19], -1
.LBB6_1231:
	s_andn2_b64 vcc, exec, s[2:3]
	s_mov_b64 s[2:3], 0
	s_cbranch_vccnz .LBB6_1240
; %bb.1232:
	s_cmp_gt_i32 s24, 14
	s_cbranch_scc0 .LBB6_1235
; %bb.1233:
	s_cmp_eq_u32 s24, 15
	s_cbranch_scc0 .LBB6_1236
; %bb.1234:
	global_load_ushort v2, v[0:1], off
	s_mov_b64 s[0:1], 0
	s_mov_b64 s[18:19], -1
	s_waitcnt vmcnt(0)
	v_lshlrev_b32_e32 v2, 16, v2
	v_cvt_f64_f32_e32 v[2:3], v2
	s_branch .LBB6_1237
.LBB6_1235:
	s_mov_b64 s[20:21], -1
                                        ; implicit-def: $vgpr2_vgpr3
	s_branch .LBB6_1238
.LBB6_1236:
	s_mov_b64 s[0:1], -1
                                        ; implicit-def: $vgpr2_vgpr3
.LBB6_1237:
	s_mov_b64 s[20:21], 0
.LBB6_1238:
	s_and_b64 vcc, exec, s[20:21]
	s_cbranch_vccz .LBB6_1240
; %bb.1239:
	s_cmp_lg_u32 s24, 11
	s_mov_b64 s[2:3], -1
	s_cselect_b64 s[0:1], -1, 0
.LBB6_1240:
	s_and_b64 vcc, exec, s[0:1]
	s_cbranch_vccnz .LBB6_1305
; %bb.1241:
	s_andn2_b64 vcc, exec, s[2:3]
	s_cbranch_vccnz .LBB6_1243
.LBB6_1242:
	global_load_ubyte v3, v[0:1], off
	v_mov_b32_e32 v4, 0x3ff00000
	v_mov_b32_e32 v2, 0
	s_mov_b64 s[18:19], -1
	s_waitcnt vmcnt(0)
	v_cmp_ne_u16_e32 vcc, 0, v3
	v_cndmask_b32_e32 v3, 0, v4, vcc
.LBB6_1243:
	s_branch .LBB6_1170
.LBB6_1244:
	s_cmp_lt_i32 s24, 5
	s_cbranch_scc1 .LBB6_1249
; %bb.1245:
	s_cmp_lt_i32 s24, 8
	s_cbranch_scc1 .LBB6_1250
; %bb.1246:
	;; [unrolled: 3-line block ×3, first 2 shown]
	s_cmp_gt_i32 s24, 9
	s_cbranch_scc0 .LBB6_1252
; %bb.1248:
	global_load_dwordx2 v[2:3], v[0:1], off
	s_mov_b64 s[0:1], 0
	s_branch .LBB6_1253
.LBB6_1249:
                                        ; implicit-def: $vgpr2_vgpr3
	s_branch .LBB6_1271
.LBB6_1250:
	s_mov_b64 s[0:1], -1
                                        ; implicit-def: $vgpr2_vgpr3
	s_branch .LBB6_1259
.LBB6_1251:
	s_mov_b64 s[0:1], -1
                                        ; implicit-def: $vgpr2_vgpr3
	s_branch .LBB6_1256
.LBB6_1252:
	s_mov_b64 s[0:1], -1
                                        ; implicit-def: $vgpr2_vgpr3
.LBB6_1253:
	s_andn2_b64 vcc, exec, s[0:1]
	s_cbranch_vccnz .LBB6_1255
; %bb.1254:
	global_load_dword v2, v[0:1], off
	s_waitcnt vmcnt(0)
	v_cvt_f64_f32_e32 v[2:3], v2
.LBB6_1255:
	s_mov_b64 s[0:1], 0
.LBB6_1256:
	s_andn2_b64 vcc, exec, s[0:1]
	s_cbranch_vccnz .LBB6_1258
; %bb.1257:
	global_load_dword v2, v[0:1], off
	s_waitcnt vmcnt(0)
	v_cvt_f32_f16_e32 v2, v2
	v_cvt_f64_f32_e32 v[2:3], v2
.LBB6_1258:
	s_mov_b64 s[0:1], 0
.LBB6_1259:
	s_andn2_b64 vcc, exec, s[0:1]
	s_cbranch_vccnz .LBB6_1270
; %bb.1260:
	s_cmp_lt_i32 s24, 6
	s_cbranch_scc1 .LBB6_1263
; %bb.1261:
	s_cmp_gt_i32 s24, 6
	s_cbranch_scc0 .LBB6_1264
; %bb.1262:
	global_load_dwordx2 v[2:3], v[0:1], off
	s_mov_b64 s[0:1], 0
	s_branch .LBB6_1265
.LBB6_1263:
	s_mov_b64 s[0:1], -1
                                        ; implicit-def: $vgpr2_vgpr3
	s_branch .LBB6_1268
.LBB6_1264:
	s_mov_b64 s[0:1], -1
                                        ; implicit-def: $vgpr2_vgpr3
.LBB6_1265:
	s_andn2_b64 vcc, exec, s[0:1]
	s_cbranch_vccnz .LBB6_1267
; %bb.1266:
	global_load_dword v2, v[0:1], off
	s_waitcnt vmcnt(0)
	v_cvt_f64_f32_e32 v[2:3], v2
.LBB6_1267:
	s_mov_b64 s[0:1], 0
.LBB6_1268:
	s_andn2_b64 vcc, exec, s[0:1]
	s_cbranch_vccnz .LBB6_1270
; %bb.1269:
	global_load_ushort v2, v[0:1], off
	s_waitcnt vmcnt(0)
	v_cvt_f32_f16_e32 v2, v2
	v_cvt_f64_f32_e32 v[2:3], v2
.LBB6_1270:
	s_cbranch_execnz .LBB6_1290
.LBB6_1271:
	s_cmp_lt_i32 s24, 2
	s_cbranch_scc1 .LBB6_1275
; %bb.1272:
	s_cmp_lt_i32 s24, 3
	s_cbranch_scc1 .LBB6_1276
; %bb.1273:
	s_cmp_gt_i32 s24, 3
	s_cbranch_scc0 .LBB6_1277
; %bb.1274:
	global_load_dwordx2 v[2:3], v[0:1], off
	s_mov_b64 s[0:1], 0
	s_waitcnt vmcnt(0)
	v_cvt_f64_i32_e32 v[3:4], v3
	v_cvt_f64_u32_e32 v[11:12], v2
	v_ldexp_f64 v[3:4], v[3:4], 32
	v_add_f64 v[2:3], v[3:4], v[11:12]
	s_branch .LBB6_1278
.LBB6_1275:
	s_mov_b64 s[0:1], -1
                                        ; implicit-def: $vgpr2_vgpr3
	s_branch .LBB6_1284
.LBB6_1276:
	s_mov_b64 s[0:1], -1
                                        ; implicit-def: $vgpr2_vgpr3
	s_branch .LBB6_1281
.LBB6_1277:
	s_mov_b64 s[0:1], -1
                                        ; implicit-def: $vgpr2_vgpr3
.LBB6_1278:
	s_andn2_b64 vcc, exec, s[0:1]
	s_cbranch_vccnz .LBB6_1280
; %bb.1279:
	global_load_dword v2, v[0:1], off
	s_waitcnt vmcnt(0)
	v_cvt_f64_i32_e32 v[2:3], v2
.LBB6_1280:
	s_mov_b64 s[0:1], 0
.LBB6_1281:
	s_andn2_b64 vcc, exec, s[0:1]
	s_cbranch_vccnz .LBB6_1283
; %bb.1282:
	global_load_sshort v2, v[0:1], off
	s_waitcnt vmcnt(0)
	v_cvt_f64_i32_e32 v[2:3], v2
.LBB6_1283:
	s_mov_b64 s[0:1], 0
.LBB6_1284:
	s_andn2_b64 vcc, exec, s[0:1]
	s_cbranch_vccnz .LBB6_1290
; %bb.1285:
	s_cmp_gt_i32 s24, 0
	s_cbranch_scc0 .LBB6_1287
; %bb.1286:
	global_load_sbyte v2, v[0:1], off
	s_mov_b64 s[0:1], 0
	s_waitcnt vmcnt(0)
	v_cvt_f64_i32_e32 v[2:3], v2
	s_branch .LBB6_1288
.LBB6_1287:
	s_mov_b64 s[0:1], -1
                                        ; implicit-def: $vgpr2_vgpr3
.LBB6_1288:
	s_andn2_b64 vcc, exec, s[0:1]
	s_cbranch_vccnz .LBB6_1290
; %bb.1289:
	global_load_ubyte v0, v[0:1], off
	s_waitcnt vmcnt(0)
	v_cvt_f64_u32_e32 v[2:3], v0
.LBB6_1290:
.LBB6_1291:
	s_waitcnt vmcnt(0)
	v_cmp_lt_f64_e32 vcc, s[14:15], v[2:3]
	v_mov_b32_e32 v4, 0
	v_mov_b32_e32 v5, 0x3ff00000
	s_and_saveexec_b64 s[0:1], vcc
	s_cbranch_execz .LBB6_1293
; %bb.1292:
	s_mov_b32 s2, 0x9abcaf48
	s_mov_b32 s3, 0x3e7ad7f2
	v_add_f64 v[0:1], v[2:3], s[2:3]
	v_div_scale_f64 v[2:3], s[2:3], v[0:1], v[0:1], s[14:15]
	v_div_scale_f64 v[13:14], vcc, s[14:15], v[0:1], s[14:15]
	v_rcp_f64_e32 v[4:5], v[2:3]
	v_fma_f64 v[11:12], -v[2:3], v[4:5], 1.0
	v_fma_f64 v[4:5], v[4:5], v[11:12], v[4:5]
	v_fma_f64 v[11:12], -v[2:3], v[4:5], 1.0
	v_fma_f64 v[4:5], v[4:5], v[11:12], v[4:5]
	v_mul_f64 v[11:12], v[13:14], v[4:5]
	v_fma_f64 v[2:3], -v[2:3], v[11:12], v[13:14]
	v_div_fmas_f64 v[2:3], v[2:3], v[4:5], v[11:12]
	v_div_fixup_f64 v[4:5], v[2:3], v[0:1], s[14:15]
.LBB6_1293:
	s_or_b64 exec, exec, s[0:1]
	v_add_u32_e32 v11, s13, v8
	v_ashrrev_i32_e32 v1, 31, v11
	v_mov_b32_e32 v2, s11
	v_add_co_u32_e32 v0, vcc, s10, v11
	s_cmp_lt_i32 s24, 11
	v_addc_co_u32_e32 v1, vcc, v2, v1, vcc
	s_cbranch_scc1 .LBB6_1300
; %bb.1294:
	s_cmp_gt_i32 s24, 25
	s_mov_b64 s[2:3], 0
	s_cbranch_scc0 .LBB6_1302
; %bb.1295:
	s_cmp_gt_i32 s24, 28
	s_cbranch_scc0 .LBB6_1303
; %bb.1296:
	s_cmp_gt_i32 s24, 43
	;; [unrolled: 3-line block ×3, first 2 shown]
	s_cbranch_scc0 .LBB6_1306
; %bb.1298:
	s_cmp_eq_u32 s24, 46
	s_mov_b64 s[20:21], 0
	s_cbranch_scc0 .LBB6_1307
; %bb.1299:
	global_load_dword v2, v[0:1], off
	s_mov_b64 s[0:1], 0
	s_mov_b64 s[18:19], -1
	s_waitcnt vmcnt(0)
	v_lshlrev_b32_e32 v2, 16, v2
	v_cvt_f64_f32_e32 v[8:9], v2
	s_branch .LBB6_1308
.LBB6_1300:
	s_mov_b64 s[18:19], 0
                                        ; implicit-def: $vgpr8_vgpr9
	s_cbranch_execnz .LBB6_1374
.LBB6_1301:
	s_andn2_b64 vcc, exec, s[18:19]
	s_cbranch_vccnz .LBB6_1634
	s_branch .LBB6_1422
.LBB6_1302:
	s_mov_b64 s[20:21], -1
	s_mov_b64 s[18:19], 0
	s_mov_b64 s[0:1], 0
                                        ; implicit-def: $vgpr8_vgpr9
	s_branch .LBB6_1339
.LBB6_1303:
	s_mov_b64 s[20:21], -1
	s_mov_b64 s[18:19], 0
	s_mov_b64 s[0:1], 0
                                        ; implicit-def: $vgpr8_vgpr9
	s_branch .LBB6_1318
.LBB6_1304:
	s_mov_b64 s[20:21], -1
	s_mov_b64 s[18:19], 0
	s_mov_b64 s[0:1], 0
                                        ; implicit-def: $vgpr8_vgpr9
	s_branch .LBB6_1313
.LBB6_1305:
	s_trap 2
	s_or_b64 s[16:17], s[16:17], exec
	s_cbranch_execz .LBB6_1242
	s_branch .LBB6_1243
.LBB6_1306:
	s_mov_b64 s[20:21], -1
	s_mov_b64 s[18:19], 0
	s_mov_b64 s[0:1], 0
                                        ; implicit-def: $vgpr8_vgpr9
	s_branch .LBB6_1308
.LBB6_1307:
	s_mov_b64 s[0:1], -1
                                        ; implicit-def: $vgpr8_vgpr9
	s_mov_b64 s[18:19], 0
.LBB6_1308:
	s_and_b64 vcc, exec, s[20:21]
	s_cbranch_vccz .LBB6_1312
; %bb.1309:
	s_cmp_eq_u32 s24, 44
	s_cbranch_scc0 .LBB6_1311
; %bb.1310:
	global_load_ubyte v8, v[0:1], off
	s_movk_i32 s18, 0xff
	v_bfrev_b32_e32 v9, 4
	v_mov_b32_e32 v12, 0x7ff80000
	v_bfrev_b32_e32 v13, 28
	s_mov_b64 s[0:1], 0
	s_waitcnt vmcnt(0)
	v_lshlrev_b32_e32 v2, 23, v8
	v_cvt_f64_f32_e32 v[2:3], v2
	v_cmp_ne_u32_e32 vcc, s18, v8
	s_mov_b64 s[18:19], -1
	v_cndmask_b32_e32 v2, v9, v2, vcc
	v_cndmask_b32_e32 v3, v12, v3, vcc
	v_cmp_ne_u32_e32 vcc, 0, v8
	v_cndmask_b32_e32 v9, v13, v3, vcc
	v_cndmask_b32_e32 v8, 0, v2, vcc
	s_branch .LBB6_1312
.LBB6_1311:
	s_mov_b64 s[0:1], -1
                                        ; implicit-def: $vgpr8_vgpr9
.LBB6_1312:
	s_mov_b64 s[20:21], 0
.LBB6_1313:
	s_and_b64 vcc, exec, s[20:21]
	s_cbranch_vccz .LBB6_1317
; %bb.1314:
	s_cmp_eq_u32 s24, 29
	s_cbranch_scc0 .LBB6_1316
; %bb.1315:
	global_load_dwordx2 v[2:3], v[0:1], off
	s_mov_b64 s[0:1], 0
	s_mov_b64 s[18:19], -1
	s_mov_b64 s[20:21], 0
	s_waitcnt vmcnt(0)
	v_cvt_f64_u32_e32 v[8:9], v3
	v_cvt_f64_u32_e32 v[2:3], v2
	v_ldexp_f64 v[8:9], v[8:9], 32
	v_add_f64 v[8:9], v[8:9], v[2:3]
	s_branch .LBB6_1318
.LBB6_1316:
	s_mov_b64 s[0:1], -1
                                        ; implicit-def: $vgpr8_vgpr9
.LBB6_1317:
	s_mov_b64 s[20:21], 0
.LBB6_1318:
	s_and_b64 vcc, exec, s[20:21]
	s_cbranch_vccz .LBB6_1338
; %bb.1319:
	s_cmp_lt_i32 s24, 27
	s_cbranch_scc1 .LBB6_1322
; %bb.1320:
	s_cmp_gt_i32 s24, 27
	s_cbranch_scc0 .LBB6_1323
; %bb.1321:
	global_load_dword v2, v[0:1], off
	s_mov_b64 s[18:19], 0
	s_waitcnt vmcnt(0)
	v_cvt_f64_u32_e32 v[8:9], v2
	s_branch .LBB6_1324
.LBB6_1322:
	s_mov_b64 s[18:19], -1
                                        ; implicit-def: $vgpr8_vgpr9
	s_branch .LBB6_1327
.LBB6_1323:
	s_mov_b64 s[18:19], -1
                                        ; implicit-def: $vgpr8_vgpr9
.LBB6_1324:
	s_andn2_b64 vcc, exec, s[18:19]
	s_cbranch_vccnz .LBB6_1326
; %bb.1325:
	global_load_ushort v2, v[0:1], off
	s_waitcnt vmcnt(0)
	v_cvt_f64_u32_e32 v[8:9], v2
.LBB6_1326:
	s_mov_b64 s[18:19], 0
.LBB6_1327:
	s_andn2_b64 vcc, exec, s[18:19]
	s_cbranch_vccnz .LBB6_1337
; %bb.1328:
	global_load_ubyte v2, v[0:1], off
	s_movk_i32 s18, 0x7f
	s_waitcnt vmcnt(0)
	v_cmp_lt_i16_e32 vcc, s18, v2
	s_mov_b64 s[18:19], 0
	s_and_saveexec_b64 s[20:21], vcc
	s_xor_b64 s[20:21], exec, s[20:21]
	s_cbranch_execz .LBB6_1332
; %bb.1329:
	s_movk_i32 s18, 0x80
	v_cmp_eq_u16_e32 vcc, s18, v2
	s_mov_b64 s[18:19], -1
	s_and_saveexec_b64 s[22:23], vcc
; %bb.1330:
	s_xor_b64 s[18:19], exec, -1
; %bb.1331:
	s_or_b64 exec, exec, s[22:23]
	s_and_b64 s[18:19], s[18:19], exec
.LBB6_1332:
	s_or_saveexec_b64 s[20:21], s[20:21]
	v_bfrev_b32_e32 v8, 4
	v_mov_b32_e32 v9, 0x7ff80000
	s_xor_b64 exec, exec, s[20:21]
; %bb.1333:
	v_cmp_ne_u16_e32 vcc, 0, v2
	v_mov_b32_e32 v8, 0
	s_andn2_b64 s[18:19], s[18:19], exec
	s_and_b64 s[22:23], vcc, exec
	v_mov_b32_e32 v9, 0
	s_or_b64 s[18:19], s[18:19], s[22:23]
; %bb.1334:
	s_or_b64 exec, exec, s[20:21]
	s_and_saveexec_b64 s[20:21], s[18:19]
	s_cbranch_execz .LBB6_1336
; %bb.1335:
	v_lshlrev_b32_e32 v3, 24, v2
	v_and_b32_e32 v2, 0xffff, v2
	v_and_b32_e32 v8, 7, v2
	v_ffbh_u32_e32 v12, v8
	v_min_u32_e32 v12, 32, v12
	v_subrev_u32_e32 v13, 28, v12
	v_bfe_u32 v9, v2, 3, 4
	v_lshlrev_b32_e32 v2, v13, v2
	v_sub_u32_e32 v12, 29, v12
	v_and_b32_e32 v2, 7, v2
	v_cmp_eq_u32_e32 vcc, 0, v9
	v_cndmask_b32_e32 v9, v9, v12, vcc
	v_cndmask_b32_e32 v2, v8, v2, vcc
	v_mov_b32_e32 v8, 0x3b800000
	v_lshlrev_b32_e32 v2, 20, v2
	v_and_b32_e32 v3, 0x80000000, v3
	v_lshl_add_u32 v8, v9, 23, v8
	v_or3_b32 v2, v3, v8, v2
	v_cvt_f64_f32_e32 v[8:9], v2
.LBB6_1336:
	s_or_b64 exec, exec, s[20:21]
.LBB6_1337:
	s_mov_b64 s[18:19], -1
.LBB6_1338:
	s_mov_b64 s[20:21], 0
.LBB6_1339:
	s_and_b64 vcc, exec, s[20:21]
	s_cbranch_vccz .LBB6_1370
; %bb.1340:
	s_cmp_gt_i32 s24, 22
	s_cbranch_scc0 .LBB6_1352
; %bb.1341:
	s_cmp_lt_i32 s24, 24
	s_cbranch_scc1 .LBB6_1353
; %bb.1342:
	s_cmp_gt_i32 s24, 24
	s_cbranch_scc0 .LBB6_1354
; %bb.1343:
	global_load_ubyte v2, v[0:1], off
	s_movk_i32 s2, 0x7f
	s_waitcnt vmcnt(0)
	v_cmp_lt_i16_e32 vcc, s2, v2
	s_mov_b64 s[2:3], 0
	s_and_saveexec_b64 s[18:19], vcc
	s_xor_b64 s[18:19], exec, s[18:19]
	s_cbranch_execz .LBB6_1347
; %bb.1344:
	s_movk_i32 s2, 0x80
	v_cmp_eq_u16_e32 vcc, s2, v2
	s_mov_b64 s[2:3], -1
	s_and_saveexec_b64 s[20:21], vcc
; %bb.1345:
	s_xor_b64 s[2:3], exec, -1
; %bb.1346:
	s_or_b64 exec, exec, s[20:21]
	s_and_b64 s[2:3], s[2:3], exec
.LBB6_1347:
	s_or_saveexec_b64 s[18:19], s[18:19]
	v_bfrev_b32_e32 v8, 4
	v_mov_b32_e32 v9, 0x7ff80000
	s_xor_b64 exec, exec, s[18:19]
; %bb.1348:
	v_cmp_ne_u16_e32 vcc, 0, v2
	v_mov_b32_e32 v8, 0
	s_andn2_b64 s[2:3], s[2:3], exec
	s_and_b64 s[20:21], vcc, exec
	v_mov_b32_e32 v9, 0
	s_or_b64 s[2:3], s[2:3], s[20:21]
; %bb.1349:
	s_or_b64 exec, exec, s[18:19]
	s_and_saveexec_b64 s[18:19], s[2:3]
	s_cbranch_execz .LBB6_1351
; %bb.1350:
	v_lshlrev_b32_e32 v3, 24, v2
	v_and_b32_e32 v2, 0xffff, v2
	v_and_b32_e32 v8, 3, v2
	v_ffbh_u32_e32 v12, v8
	v_min_u32_e32 v12, 32, v12
	v_subrev_u32_e32 v13, 29, v12
	v_bfe_u32 v9, v2, 2, 5
	v_lshlrev_b32_e32 v2, v13, v2
	v_sub_u32_e32 v12, 30, v12
	v_and_b32_e32 v2, 3, v2
	v_cmp_eq_u32_e32 vcc, 0, v9
	v_cndmask_b32_e32 v9, v9, v12, vcc
	v_cndmask_b32_e32 v2, v8, v2, vcc
	v_mov_b32_e32 v8, 0x37800000
	v_lshlrev_b32_e32 v2, 21, v2
	v_and_b32_e32 v3, 0x80000000, v3
	v_lshl_add_u32 v8, v9, 23, v8
	v_or3_b32 v2, v3, v8, v2
	v_cvt_f64_f32_e32 v[8:9], v2
.LBB6_1351:
	s_or_b64 exec, exec, s[18:19]
	s_mov_b64 s[2:3], 0
	s_branch .LBB6_1355
.LBB6_1352:
	s_mov_b64 s[2:3], -1
                                        ; implicit-def: $vgpr8_vgpr9
	s_branch .LBB6_1361
.LBB6_1353:
	s_mov_b64 s[2:3], -1
                                        ; implicit-def: $vgpr8_vgpr9
	s_branch .LBB6_1358
.LBB6_1354:
	s_mov_b64 s[2:3], -1
                                        ; implicit-def: $vgpr8_vgpr9
.LBB6_1355:
	s_and_b64 vcc, exec, s[2:3]
	s_cbranch_vccz .LBB6_1357
; %bb.1356:
	global_load_ubyte v2, v[0:1], off
	s_mov_b32 s2, 0x7f800000
	s_waitcnt vmcnt(0)
	v_lshlrev_b32_e32 v2, 24, v2
	v_and_b32_e32 v3, 0x7f000000, v2
	v_ffbh_u32_e32 v8, v3
	v_min_u32_e32 v8, 32, v8
	v_sub_u32_e64 v8, v8, 4 clamp
	v_lshlrev_b32_e32 v12, v8, v3
	v_lshlrev_b32_e32 v8, 23, v8
	v_lshrrev_b32_e32 v12, 4, v12
	v_add_u32_e32 v9, 0x1000000, v3
	v_sub_u32_e32 v8, v12, v8
	v_ashrrev_i32_e32 v9, 8, v9
	v_add_u32_e32 v8, 0x3c000000, v8
	v_and_or_b32 v8, v9, s2, v8
	v_cmp_ne_u32_e32 vcc, 0, v3
	v_cndmask_b32_e32 v3, 0, v8, vcc
	s_brev_b32 s2, 1
	v_and_or_b32 v2, v2, s2, v3
	v_cvt_f64_f32_e32 v[8:9], v2
.LBB6_1357:
	s_mov_b64 s[2:3], 0
.LBB6_1358:
	s_andn2_b64 vcc, exec, s[2:3]
	s_cbranch_vccnz .LBB6_1360
; %bb.1359:
	global_load_ubyte v2, v[0:1], off
	s_movk_i32 s2, 0x7f00
	s_brev_b32 s3, 16
	s_waitcnt vmcnt(0)
	v_lshlrev_b16_e32 v3, 8, v2
	v_lshlrev_b32_e32 v2, 25, v2
	v_lshrrev_b32_e32 v8, 4, v2
	v_and_or_b32 v9, v3, s2, 0.5
	v_or_b32_e32 v8, 0x70000000, v8
	v_add_f32_e32 v9, -0.5, v9
	v_mul_f32_e32 v8, 0x7800000, v8
	v_cmp_gt_u32_e32 vcc, s3, v2
	v_bfe_i32 v3, v3, 0, 16
	v_cndmask_b32_e32 v2, v8, v9, vcc
	s_brev_b32 s2, 1
	v_and_or_b32 v2, v3, s2, v2
	v_cvt_f64_f32_e32 v[8:9], v2
.LBB6_1360:
	s_mov_b64 s[2:3], 0
	s_mov_b64 s[18:19], -1
.LBB6_1361:
	s_andn2_b64 vcc, exec, s[2:3]
	s_mov_b64 s[2:3], 0
	s_cbranch_vccnz .LBB6_1370
; %bb.1362:
	s_cmp_gt_i32 s24, 14
	s_cbranch_scc0 .LBB6_1365
; %bb.1363:
	s_cmp_eq_u32 s24, 15
	s_cbranch_scc0 .LBB6_1366
; %bb.1364:
	global_load_ushort v2, v[0:1], off
	s_mov_b64 s[0:1], 0
	s_mov_b64 s[18:19], -1
	s_waitcnt vmcnt(0)
	v_lshlrev_b32_e32 v2, 16, v2
	v_cvt_f64_f32_e32 v[8:9], v2
	s_branch .LBB6_1367
.LBB6_1365:
	s_mov_b64 s[20:21], -1
                                        ; implicit-def: $vgpr8_vgpr9
	s_branch .LBB6_1368
.LBB6_1366:
	s_mov_b64 s[0:1], -1
                                        ; implicit-def: $vgpr8_vgpr9
.LBB6_1367:
	s_mov_b64 s[20:21], 0
.LBB6_1368:
	s_and_b64 vcc, exec, s[20:21]
	s_cbranch_vccz .LBB6_1370
; %bb.1369:
	s_cmp_lg_u32 s24, 11
	s_mov_b64 s[2:3], -1
	s_cselect_b64 s[0:1], -1, 0
.LBB6_1370:
	s_and_b64 vcc, exec, s[0:1]
	s_cbranch_vccnz .LBB6_1435
; %bb.1371:
	s_andn2_b64 vcc, exec, s[2:3]
	s_cbranch_vccnz .LBB6_1373
.LBB6_1372:
	global_load_ubyte v2, v[0:1], off
	v_mov_b32_e32 v3, 0x3ff00000
	v_mov_b32_e32 v8, 0
	s_mov_b64 s[18:19], -1
	s_waitcnt vmcnt(0)
	v_cmp_ne_u16_e32 vcc, 0, v2
	v_cndmask_b32_e32 v9, 0, v3, vcc
.LBB6_1373:
	s_branch .LBB6_1301
.LBB6_1374:
	s_cmp_lt_i32 s24, 5
	s_cbranch_scc1 .LBB6_1379
; %bb.1375:
	s_cmp_lt_i32 s24, 8
	s_cbranch_scc1 .LBB6_1380
; %bb.1376:
	;; [unrolled: 3-line block ×3, first 2 shown]
	s_cmp_gt_i32 s24, 9
	s_cbranch_scc0 .LBB6_1382
; %bb.1378:
	global_load_dwordx2 v[8:9], v[0:1], off
	s_mov_b64 s[0:1], 0
	s_branch .LBB6_1383
.LBB6_1379:
	s_mov_b64 s[0:1], -1
                                        ; implicit-def: $vgpr8_vgpr9
	s_branch .LBB6_1401
.LBB6_1380:
	s_mov_b64 s[0:1], -1
                                        ; implicit-def: $vgpr8_vgpr9
	s_branch .LBB6_1389
.LBB6_1381:
	s_mov_b64 s[0:1], -1
                                        ; implicit-def: $vgpr8_vgpr9
	s_branch .LBB6_1386
.LBB6_1382:
	s_mov_b64 s[0:1], -1
                                        ; implicit-def: $vgpr8_vgpr9
.LBB6_1383:
	s_andn2_b64 vcc, exec, s[0:1]
	s_cbranch_vccnz .LBB6_1385
; %bb.1384:
	global_load_dword v2, v[0:1], off
	s_waitcnt vmcnt(0)
	v_cvt_f64_f32_e32 v[8:9], v2
.LBB6_1385:
	s_mov_b64 s[0:1], 0
.LBB6_1386:
	s_andn2_b64 vcc, exec, s[0:1]
	s_cbranch_vccnz .LBB6_1388
; %bb.1387:
	global_load_dword v2, v[0:1], off
	s_waitcnt vmcnt(0)
	v_cvt_f32_f16_e32 v2, v2
	v_cvt_f64_f32_e32 v[8:9], v2
.LBB6_1388:
	s_mov_b64 s[0:1], 0
.LBB6_1389:
	s_andn2_b64 vcc, exec, s[0:1]
	s_cbranch_vccnz .LBB6_1400
; %bb.1390:
	s_cmp_lt_i32 s24, 6
	s_cbranch_scc1 .LBB6_1393
; %bb.1391:
	s_cmp_gt_i32 s24, 6
	s_cbranch_scc0 .LBB6_1394
; %bb.1392:
	global_load_dwordx2 v[8:9], v[0:1], off
	s_mov_b64 s[0:1], 0
	s_branch .LBB6_1395
.LBB6_1393:
	s_mov_b64 s[0:1], -1
                                        ; implicit-def: $vgpr8_vgpr9
	s_branch .LBB6_1398
.LBB6_1394:
	s_mov_b64 s[0:1], -1
                                        ; implicit-def: $vgpr8_vgpr9
.LBB6_1395:
	s_andn2_b64 vcc, exec, s[0:1]
	s_cbranch_vccnz .LBB6_1397
; %bb.1396:
	global_load_dword v2, v[0:1], off
	s_waitcnt vmcnt(0)
	v_cvt_f64_f32_e32 v[8:9], v2
.LBB6_1397:
	s_mov_b64 s[0:1], 0
.LBB6_1398:
	s_andn2_b64 vcc, exec, s[0:1]
	s_cbranch_vccnz .LBB6_1400
; %bb.1399:
	global_load_ushort v2, v[0:1], off
	s_waitcnt vmcnt(0)
	v_cvt_f32_f16_e32 v2, v2
	v_cvt_f64_f32_e32 v[8:9], v2
.LBB6_1400:
	s_mov_b64 s[0:1], 0
.LBB6_1401:
	s_andn2_b64 vcc, exec, s[0:1]
	s_cbranch_vccnz .LBB6_1421
; %bb.1402:
	s_cmp_lt_i32 s24, 2
	s_cbranch_scc1 .LBB6_1406
; %bb.1403:
	s_cmp_lt_i32 s24, 3
	s_cbranch_scc1 .LBB6_1407
; %bb.1404:
	s_cmp_gt_i32 s24, 3
	s_cbranch_scc0 .LBB6_1408
; %bb.1405:
	global_load_dwordx2 v[2:3], v[0:1], off
	s_mov_b64 s[0:1], 0
	s_waitcnt vmcnt(0)
	v_cvt_f64_i32_e32 v[8:9], v3
	v_cvt_f64_u32_e32 v[2:3], v2
	v_ldexp_f64 v[8:9], v[8:9], 32
	v_add_f64 v[8:9], v[8:9], v[2:3]
	s_branch .LBB6_1409
.LBB6_1406:
	s_mov_b64 s[0:1], -1
                                        ; implicit-def: $vgpr8_vgpr9
	s_branch .LBB6_1415
.LBB6_1407:
	s_mov_b64 s[0:1], -1
                                        ; implicit-def: $vgpr8_vgpr9
	s_branch .LBB6_1412
.LBB6_1408:
	s_mov_b64 s[0:1], -1
                                        ; implicit-def: $vgpr8_vgpr9
.LBB6_1409:
	s_andn2_b64 vcc, exec, s[0:1]
	s_cbranch_vccnz .LBB6_1411
; %bb.1410:
	global_load_dword v2, v[0:1], off
	s_waitcnt vmcnt(0)
	v_cvt_f64_i32_e32 v[8:9], v2
.LBB6_1411:
	s_mov_b64 s[0:1], 0
.LBB6_1412:
	s_andn2_b64 vcc, exec, s[0:1]
	s_cbranch_vccnz .LBB6_1414
; %bb.1413:
	global_load_sshort v2, v[0:1], off
	s_waitcnt vmcnt(0)
	v_cvt_f64_i32_e32 v[8:9], v2
.LBB6_1414:
	s_mov_b64 s[0:1], 0
.LBB6_1415:
	s_andn2_b64 vcc, exec, s[0:1]
	s_cbranch_vccnz .LBB6_1421
; %bb.1416:
	s_cmp_gt_i32 s24, 0
	s_cbranch_scc0 .LBB6_1418
; %bb.1417:
	global_load_sbyte v2, v[0:1], off
	s_mov_b64 s[0:1], 0
	s_waitcnt vmcnt(0)
	v_cvt_f64_i32_e32 v[8:9], v2
	s_branch .LBB6_1419
.LBB6_1418:
	s_mov_b64 s[0:1], -1
                                        ; implicit-def: $vgpr8_vgpr9
.LBB6_1419:
	s_andn2_b64 vcc, exec, s[0:1]
	s_cbranch_vccnz .LBB6_1421
; %bb.1420:
	global_load_ubyte v0, v[0:1], off
	s_waitcnt vmcnt(0)
	v_cvt_f64_u32_e32 v[8:9], v0
.LBB6_1421:
.LBB6_1422:
	s_waitcnt vmcnt(0)
	v_cmp_lt_f64_e32 vcc, s[14:15], v[8:9]
	v_mov_b32_e32 v2, 0
	v_mov_b32_e32 v3, 0x3ff00000
	s_and_saveexec_b64 s[0:1], vcc
	s_cbranch_execz .LBB6_1424
; %bb.1423:
	s_mov_b32 s2, 0x9abcaf48
	s_mov_b32 s3, 0x3e7ad7f2
	v_add_f64 v[0:1], v[8:9], s[2:3]
	v_div_scale_f64 v[2:3], s[2:3], v[0:1], v[0:1], s[14:15]
	v_div_scale_f64 v[14:15], vcc, s[14:15], v[0:1], s[14:15]
	v_rcp_f64_e32 v[8:9], v[2:3]
	v_fma_f64 v[12:13], -v[2:3], v[8:9], 1.0
	v_fma_f64 v[8:9], v[8:9], v[12:13], v[8:9]
	v_fma_f64 v[12:13], -v[2:3], v[8:9], 1.0
	v_fma_f64 v[8:9], v[8:9], v[12:13], v[8:9]
	v_mul_f64 v[12:13], v[14:15], v[8:9]
	v_fma_f64 v[2:3], -v[2:3], v[12:13], v[14:15]
	v_div_fmas_f64 v[2:3], v[2:3], v[8:9], v[12:13]
	v_div_fixup_f64 v[2:3], v[2:3], v[0:1], s[14:15]
.LBB6_1424:
	s_or_b64 exec, exec, s[0:1]
	v_add_u32_e32 v0, s13, v11
	v_ashrrev_i32_e32 v1, 31, v0
	v_mov_b32_e32 v8, s11
	v_add_co_u32_e32 v0, vcc, s10, v0
	s_cmp_lt_i32 s24, 11
	v_addc_co_u32_e32 v1, vcc, v8, v1, vcc
	s_cbranch_scc1 .LBB6_1431
; %bb.1425:
	s_cmp_gt_i32 s24, 25
	s_mov_b64 s[2:3], 0
	s_cbranch_scc0 .LBB6_1432
; %bb.1426:
	s_cmp_gt_i32 s24, 28
	s_cbranch_scc0 .LBB6_1433
; %bb.1427:
	s_cmp_gt_i32 s24, 43
	;; [unrolled: 3-line block ×3, first 2 shown]
	s_cbranch_scc0 .LBB6_1436
; %bb.1429:
	s_cmp_eq_u32 s24, 46
	s_mov_b64 s[18:19], 0
	s_cbranch_scc0 .LBB6_1437
; %bb.1430:
	global_load_dword v8, v[0:1], off
	s_mov_b64 s[0:1], 0
	s_mov_b64 s[10:11], -1
	s_waitcnt vmcnt(0)
	v_lshlrev_b32_e32 v8, 16, v8
	v_cvt_f64_f32_e32 v[8:9], v8
	s_branch .LBB6_1438
.LBB6_1431:
	s_mov_b64 s[0:1], -1
	s_mov_b64 s[10:11], 0
                                        ; implicit-def: $vgpr8_vgpr9
	s_branch .LBB6_1504
.LBB6_1432:
	s_mov_b64 s[18:19], -1
	s_mov_b64 s[10:11], 0
	s_mov_b64 s[0:1], 0
                                        ; implicit-def: $vgpr8_vgpr9
	s_branch .LBB6_1469
.LBB6_1433:
	s_mov_b64 s[18:19], -1
	s_mov_b64 s[10:11], 0
	s_mov_b64 s[0:1], 0
                                        ; implicit-def: $vgpr8_vgpr9
	s_branch .LBB6_1448
.LBB6_1434:
	s_mov_b64 s[18:19], -1
	s_mov_b64 s[10:11], 0
	s_mov_b64 s[0:1], 0
                                        ; implicit-def: $vgpr8_vgpr9
	s_branch .LBB6_1443
.LBB6_1435:
	s_trap 2
	s_or_b64 s[16:17], s[16:17], exec
	s_cbranch_execz .LBB6_1372
	s_branch .LBB6_1373
.LBB6_1436:
	s_mov_b64 s[18:19], -1
	s_mov_b64 s[10:11], 0
	s_mov_b64 s[0:1], 0
                                        ; implicit-def: $vgpr8_vgpr9
	s_branch .LBB6_1438
.LBB6_1437:
	s_mov_b64 s[0:1], -1
                                        ; implicit-def: $vgpr8_vgpr9
	s_mov_b64 s[10:11], 0
.LBB6_1438:
	s_and_b64 vcc, exec, s[18:19]
	s_cbranch_vccz .LBB6_1442
; %bb.1439:
	s_cmp_eq_u32 s24, 44
	s_cbranch_scc0 .LBB6_1441
; %bb.1440:
	global_load_ubyte v11, v[0:1], off
	s_movk_i32 s10, 0xff
	v_bfrev_b32_e32 v12, 4
	v_mov_b32_e32 v13, 0x7ff80000
	v_bfrev_b32_e32 v14, 28
	s_mov_b64 s[0:1], 0
	s_waitcnt vmcnt(0)
	v_lshlrev_b32_e32 v8, 23, v11
	v_cvt_f64_f32_e32 v[8:9], v8
	v_cmp_ne_u32_e32 vcc, s10, v11
	s_mov_b64 s[10:11], -1
	v_cndmask_b32_e32 v8, v12, v8, vcc
	v_cndmask_b32_e32 v9, v13, v9, vcc
	v_cmp_ne_u32_e32 vcc, 0, v11
	v_cndmask_b32_e32 v9, v14, v9, vcc
	v_cndmask_b32_e32 v8, 0, v8, vcc
	s_branch .LBB6_1442
.LBB6_1441:
	s_mov_b64 s[0:1], -1
                                        ; implicit-def: $vgpr8_vgpr9
.LBB6_1442:
	s_mov_b64 s[18:19], 0
.LBB6_1443:
	s_and_b64 vcc, exec, s[18:19]
	s_cbranch_vccz .LBB6_1447
; %bb.1444:
	s_cmp_eq_u32 s24, 29
	s_cbranch_scc0 .LBB6_1446
; %bb.1445:
	global_load_dwordx2 v[8:9], v[0:1], off
	s_mov_b64 s[0:1], 0
	s_mov_b64 s[10:11], -1
	s_mov_b64 s[18:19], 0
	s_waitcnt vmcnt(0)
	v_cvt_f64_u32_e32 v[11:12], v9
	v_cvt_f64_u32_e32 v[8:9], v8
	v_ldexp_f64 v[11:12], v[11:12], 32
	v_add_f64 v[8:9], v[11:12], v[8:9]
	s_branch .LBB6_1448
.LBB6_1446:
	s_mov_b64 s[0:1], -1
                                        ; implicit-def: $vgpr8_vgpr9
.LBB6_1447:
	s_mov_b64 s[18:19], 0
.LBB6_1448:
	s_and_b64 vcc, exec, s[18:19]
	s_cbranch_vccz .LBB6_1468
; %bb.1449:
	s_cmp_lt_i32 s24, 27
	s_cbranch_scc1 .LBB6_1452
; %bb.1450:
	s_cmp_gt_i32 s24, 27
	s_cbranch_scc0 .LBB6_1453
; %bb.1451:
	global_load_dword v8, v[0:1], off
	s_mov_b64 s[10:11], 0
	s_waitcnt vmcnt(0)
	v_cvt_f64_u32_e32 v[8:9], v8
	s_branch .LBB6_1454
.LBB6_1452:
	s_mov_b64 s[10:11], -1
                                        ; implicit-def: $vgpr8_vgpr9
	s_branch .LBB6_1457
.LBB6_1453:
	s_mov_b64 s[10:11], -1
                                        ; implicit-def: $vgpr8_vgpr9
.LBB6_1454:
	s_andn2_b64 vcc, exec, s[10:11]
	s_cbranch_vccnz .LBB6_1456
; %bb.1455:
	global_load_ushort v8, v[0:1], off
	s_waitcnt vmcnt(0)
	v_cvt_f64_u32_e32 v[8:9], v8
.LBB6_1456:
	s_mov_b64 s[10:11], 0
.LBB6_1457:
	s_andn2_b64 vcc, exec, s[10:11]
	s_cbranch_vccnz .LBB6_1467
; %bb.1458:
	global_load_ubyte v11, v[0:1], off
	s_movk_i32 s10, 0x7f
	s_waitcnt vmcnt(0)
	v_cmp_lt_i16_e32 vcc, s10, v11
	s_mov_b64 s[10:11], 0
	s_and_saveexec_b64 s[18:19], vcc
	s_xor_b64 s[18:19], exec, s[18:19]
	s_cbranch_execz .LBB6_1462
; %bb.1459:
	s_movk_i32 s10, 0x80
	v_cmp_eq_u16_e32 vcc, s10, v11
	s_mov_b64 s[10:11], -1
	s_and_saveexec_b64 s[20:21], vcc
; %bb.1460:
	s_xor_b64 s[10:11], exec, -1
; %bb.1461:
	s_or_b64 exec, exec, s[20:21]
	s_and_b64 s[10:11], s[10:11], exec
.LBB6_1462:
	s_or_saveexec_b64 s[18:19], s[18:19]
	v_bfrev_b32_e32 v8, 4
	v_mov_b32_e32 v9, 0x7ff80000
	s_xor_b64 exec, exec, s[18:19]
; %bb.1463:
	v_cmp_ne_u16_e32 vcc, 0, v11
	v_mov_b32_e32 v8, 0
	s_andn2_b64 s[10:11], s[10:11], exec
	s_and_b64 s[20:21], vcc, exec
	v_mov_b32_e32 v9, 0
	s_or_b64 s[10:11], s[10:11], s[20:21]
; %bb.1464:
	s_or_b64 exec, exec, s[18:19]
	s_and_saveexec_b64 s[18:19], s[10:11]
	s_cbranch_execz .LBB6_1466
; %bb.1465:
	v_and_b32_e32 v9, 0xffff, v11
	v_lshlrev_b32_e32 v8, 24, v11
	v_and_b32_e32 v11, 7, v9
	v_ffbh_u32_e32 v13, v11
	v_min_u32_e32 v13, 32, v13
	v_subrev_u32_e32 v14, 28, v13
	v_bfe_u32 v12, v9, 3, 4
	v_lshlrev_b32_e32 v9, v14, v9
	v_sub_u32_e32 v13, 29, v13
	v_and_b32_e32 v9, 7, v9
	v_cmp_eq_u32_e32 vcc, 0, v12
	v_cndmask_b32_e32 v12, v12, v13, vcc
	v_cndmask_b32_e32 v9, v11, v9, vcc
	v_mov_b32_e32 v11, 0x3b800000
	v_lshlrev_b32_e32 v9, 20, v9
	v_and_b32_e32 v8, 0x80000000, v8
	v_lshl_add_u32 v11, v12, 23, v11
	v_or3_b32 v8, v8, v11, v9
	v_cvt_f64_f32_e32 v[8:9], v8
.LBB6_1466:
	s_or_b64 exec, exec, s[18:19]
.LBB6_1467:
	s_mov_b64 s[10:11], -1
.LBB6_1468:
	s_mov_b64 s[18:19], 0
.LBB6_1469:
	s_and_b64 vcc, exec, s[18:19]
	s_cbranch_vccz .LBB6_1500
; %bb.1470:
	s_cmp_gt_i32 s24, 22
	s_cbranch_scc0 .LBB6_1482
; %bb.1471:
	s_cmp_lt_i32 s24, 24
	s_cbranch_scc1 .LBB6_1483
; %bb.1472:
	s_cmp_gt_i32 s24, 24
	s_cbranch_scc0 .LBB6_1484
; %bb.1473:
	global_load_ubyte v11, v[0:1], off
	s_movk_i32 s2, 0x7f
	s_waitcnt vmcnt(0)
	v_cmp_lt_i16_e32 vcc, s2, v11
	s_mov_b64 s[2:3], 0
	s_and_saveexec_b64 s[10:11], vcc
	s_xor_b64 s[10:11], exec, s[10:11]
	s_cbranch_execz .LBB6_1477
; %bb.1474:
	s_movk_i32 s2, 0x80
	v_cmp_eq_u16_e32 vcc, s2, v11
	s_mov_b64 s[2:3], -1
	s_and_saveexec_b64 s[18:19], vcc
; %bb.1475:
	s_xor_b64 s[2:3], exec, -1
; %bb.1476:
	s_or_b64 exec, exec, s[18:19]
	s_and_b64 s[2:3], s[2:3], exec
.LBB6_1477:
	s_or_saveexec_b64 s[10:11], s[10:11]
	v_bfrev_b32_e32 v8, 4
	v_mov_b32_e32 v9, 0x7ff80000
	s_xor_b64 exec, exec, s[10:11]
; %bb.1478:
	v_cmp_ne_u16_e32 vcc, 0, v11
	v_mov_b32_e32 v8, 0
	s_andn2_b64 s[2:3], s[2:3], exec
	s_and_b64 s[18:19], vcc, exec
	v_mov_b32_e32 v9, 0
	s_or_b64 s[2:3], s[2:3], s[18:19]
; %bb.1479:
	s_or_b64 exec, exec, s[10:11]
	s_and_saveexec_b64 s[10:11], s[2:3]
	s_cbranch_execz .LBB6_1481
; %bb.1480:
	v_and_b32_e32 v9, 0xffff, v11
	v_lshlrev_b32_e32 v8, 24, v11
	v_and_b32_e32 v11, 3, v9
	v_ffbh_u32_e32 v13, v11
	v_min_u32_e32 v13, 32, v13
	v_subrev_u32_e32 v14, 29, v13
	v_bfe_u32 v12, v9, 2, 5
	v_lshlrev_b32_e32 v9, v14, v9
	v_sub_u32_e32 v13, 30, v13
	v_and_b32_e32 v9, 3, v9
	v_cmp_eq_u32_e32 vcc, 0, v12
	v_cndmask_b32_e32 v12, v12, v13, vcc
	v_cndmask_b32_e32 v9, v11, v9, vcc
	v_mov_b32_e32 v11, 0x37800000
	v_lshlrev_b32_e32 v9, 21, v9
	v_and_b32_e32 v8, 0x80000000, v8
	v_lshl_add_u32 v11, v12, 23, v11
	v_or3_b32 v8, v8, v11, v9
	v_cvt_f64_f32_e32 v[8:9], v8
.LBB6_1481:
	s_or_b64 exec, exec, s[10:11]
	s_mov_b64 s[2:3], 0
	s_branch .LBB6_1485
.LBB6_1482:
	s_mov_b64 s[2:3], -1
                                        ; implicit-def: $vgpr8_vgpr9
	s_branch .LBB6_1491
.LBB6_1483:
	s_mov_b64 s[2:3], -1
                                        ; implicit-def: $vgpr8_vgpr9
	s_branch .LBB6_1488
.LBB6_1484:
	s_mov_b64 s[2:3], -1
                                        ; implicit-def: $vgpr8_vgpr9
.LBB6_1485:
	s_and_b64 vcc, exec, s[2:3]
	s_cbranch_vccz .LBB6_1487
; %bb.1486:
	global_load_ubyte v8, v[0:1], off
	s_mov_b32 s2, 0x7f800000
	s_waitcnt vmcnt(0)
	v_lshlrev_b32_e32 v8, 24, v8
	v_and_b32_e32 v9, 0x7f000000, v8
	v_ffbh_u32_e32 v11, v9
	v_min_u32_e32 v11, 32, v11
	v_sub_u32_e64 v11, v11, 4 clamp
	v_lshlrev_b32_e32 v13, v11, v9
	v_lshlrev_b32_e32 v11, 23, v11
	v_lshrrev_b32_e32 v13, 4, v13
	v_add_u32_e32 v12, 0x1000000, v9
	v_sub_u32_e32 v11, v13, v11
	v_ashrrev_i32_e32 v12, 8, v12
	v_add_u32_e32 v11, 0x3c000000, v11
	v_and_or_b32 v11, v12, s2, v11
	v_cmp_ne_u32_e32 vcc, 0, v9
	v_cndmask_b32_e32 v9, 0, v11, vcc
	s_brev_b32 s2, 1
	v_and_or_b32 v8, v8, s2, v9
	v_cvt_f64_f32_e32 v[8:9], v8
.LBB6_1487:
	s_mov_b64 s[2:3], 0
.LBB6_1488:
	s_andn2_b64 vcc, exec, s[2:3]
	s_cbranch_vccnz .LBB6_1490
; %bb.1489:
	global_load_ubyte v8, v[0:1], off
	s_movk_i32 s2, 0x7f00
	s_brev_b32 s3, 16
	s_waitcnt vmcnt(0)
	v_lshlrev_b16_e32 v9, 8, v8
	v_lshlrev_b32_e32 v8, 25, v8
	v_lshrrev_b32_e32 v11, 4, v8
	v_and_or_b32 v12, v9, s2, 0.5
	v_or_b32_e32 v11, 0x70000000, v11
	v_add_f32_e32 v12, -0.5, v12
	v_mul_f32_e32 v11, 0x7800000, v11
	v_cmp_gt_u32_e32 vcc, s3, v8
	v_bfe_i32 v9, v9, 0, 16
	v_cndmask_b32_e32 v8, v11, v12, vcc
	s_brev_b32 s2, 1
	v_and_or_b32 v8, v9, s2, v8
	v_cvt_f64_f32_e32 v[8:9], v8
.LBB6_1490:
	s_mov_b64 s[2:3], 0
	s_mov_b64 s[10:11], -1
.LBB6_1491:
	s_andn2_b64 vcc, exec, s[2:3]
	s_mov_b64 s[2:3], 0
	s_cbranch_vccnz .LBB6_1500
; %bb.1492:
	s_cmp_gt_i32 s24, 14
	s_cbranch_scc0 .LBB6_1495
; %bb.1493:
	s_cmp_eq_u32 s24, 15
	s_cbranch_scc0 .LBB6_1496
; %bb.1494:
	global_load_ushort v8, v[0:1], off
	s_mov_b64 s[0:1], 0
	s_mov_b64 s[10:11], -1
	s_waitcnt vmcnt(0)
	v_lshlrev_b32_e32 v8, 16, v8
	v_cvt_f64_f32_e32 v[8:9], v8
	s_branch .LBB6_1497
.LBB6_1495:
	s_mov_b64 s[18:19], -1
                                        ; implicit-def: $vgpr8_vgpr9
	s_branch .LBB6_1498
.LBB6_1496:
	s_mov_b64 s[0:1], -1
                                        ; implicit-def: $vgpr8_vgpr9
.LBB6_1497:
	s_mov_b64 s[18:19], 0
.LBB6_1498:
	s_and_b64 vcc, exec, s[18:19]
	s_cbranch_vccz .LBB6_1500
; %bb.1499:
	s_cmp_lg_u32 s24, 11
	s_mov_b64 s[2:3], -1
	s_cselect_b64 s[0:1], -1, 0
.LBB6_1500:
	s_and_b64 vcc, exec, s[0:1]
	s_cbranch_vccnz .LBB6_2037
; %bb.1501:
	s_andn2_b64 vcc, exec, s[2:3]
	s_cbranch_vccnz .LBB6_1503
.LBB6_1502:
	global_load_ubyte v9, v[0:1], off
	v_mov_b32_e32 v11, 0x3ff00000
	v_mov_b32_e32 v8, 0
	s_mov_b64 s[10:11], -1
	s_waitcnt vmcnt(0)
	v_cmp_ne_u16_e32 vcc, 0, v9
	v_cndmask_b32_e32 v9, 0, v11, vcc
.LBB6_1503:
	s_mov_b64 s[0:1], 0
.LBB6_1504:
	s_and_b64 vcc, exec, s[0:1]
	s_cbranch_vccz .LBB6_1553
; %bb.1505:
	s_cmp_lt_i32 s24, 5
	s_cbranch_scc1 .LBB6_1510
; %bb.1506:
	s_cmp_lt_i32 s24, 8
	s_cbranch_scc1 .LBB6_1511
	;; [unrolled: 3-line block ×3, first 2 shown]
; %bb.1508:
	s_cmp_gt_i32 s24, 9
	s_cbranch_scc0 .LBB6_1513
; %bb.1509:
	global_load_dwordx2 v[8:9], v[0:1], off
	s_mov_b64 s[0:1], 0
	s_branch .LBB6_1514
.LBB6_1510:
	s_mov_b64 s[0:1], -1
                                        ; implicit-def: $vgpr8_vgpr9
	s_branch .LBB6_1532
.LBB6_1511:
	s_mov_b64 s[0:1], -1
                                        ; implicit-def: $vgpr8_vgpr9
	s_branch .LBB6_1520
.LBB6_1512:
	s_mov_b64 s[0:1], -1
                                        ; implicit-def: $vgpr8_vgpr9
	s_branch .LBB6_1517
.LBB6_1513:
	s_mov_b64 s[0:1], -1
                                        ; implicit-def: $vgpr8_vgpr9
.LBB6_1514:
	s_andn2_b64 vcc, exec, s[0:1]
	s_cbranch_vccnz .LBB6_1516
; %bb.1515:
	global_load_dword v8, v[0:1], off
	s_waitcnt vmcnt(0)
	v_cvt_f64_f32_e32 v[8:9], v8
.LBB6_1516:
	s_mov_b64 s[0:1], 0
.LBB6_1517:
	s_andn2_b64 vcc, exec, s[0:1]
	s_cbranch_vccnz .LBB6_1519
; %bb.1518:
	global_load_dword v8, v[0:1], off
	s_waitcnt vmcnt(0)
	v_cvt_f32_f16_e32 v8, v8
	v_cvt_f64_f32_e32 v[8:9], v8
.LBB6_1519:
	s_mov_b64 s[0:1], 0
.LBB6_1520:
	s_andn2_b64 vcc, exec, s[0:1]
	s_cbranch_vccnz .LBB6_1531
; %bb.1521:
	s_cmp_lt_i32 s24, 6
	s_cbranch_scc1 .LBB6_1524
; %bb.1522:
	s_cmp_gt_i32 s24, 6
	s_cbranch_scc0 .LBB6_1525
; %bb.1523:
	global_load_dwordx2 v[8:9], v[0:1], off
	s_mov_b64 s[0:1], 0
	s_branch .LBB6_1526
.LBB6_1524:
	s_mov_b64 s[0:1], -1
                                        ; implicit-def: $vgpr8_vgpr9
	s_branch .LBB6_1529
.LBB6_1525:
	s_mov_b64 s[0:1], -1
                                        ; implicit-def: $vgpr8_vgpr9
.LBB6_1526:
	s_andn2_b64 vcc, exec, s[0:1]
	s_cbranch_vccnz .LBB6_1528
; %bb.1527:
	global_load_dword v8, v[0:1], off
	s_waitcnt vmcnt(0)
	v_cvt_f64_f32_e32 v[8:9], v8
.LBB6_1528:
	s_mov_b64 s[0:1], 0
.LBB6_1529:
	s_andn2_b64 vcc, exec, s[0:1]
	s_cbranch_vccnz .LBB6_1531
; %bb.1530:
	global_load_ushort v8, v[0:1], off
	s_waitcnt vmcnt(0)
	v_cvt_f32_f16_e32 v8, v8
	v_cvt_f64_f32_e32 v[8:9], v8
.LBB6_1531:
	s_mov_b64 s[0:1], 0
.LBB6_1532:
	s_andn2_b64 vcc, exec, s[0:1]
	s_cbranch_vccnz .LBB6_1552
; %bb.1533:
	s_cmp_lt_i32 s24, 2
	s_cbranch_scc1 .LBB6_1537
; %bb.1534:
	s_cmp_lt_i32 s24, 3
	s_cbranch_scc1 .LBB6_1538
; %bb.1535:
	s_cmp_gt_i32 s24, 3
	s_cbranch_scc0 .LBB6_1539
; %bb.1536:
	global_load_dwordx2 v[8:9], v[0:1], off
	s_mov_b64 s[0:1], 0
	s_waitcnt vmcnt(0)
	v_cvt_f64_i32_e32 v[11:12], v9
	v_cvt_f64_u32_e32 v[8:9], v8
	v_ldexp_f64 v[11:12], v[11:12], 32
	v_add_f64 v[8:9], v[11:12], v[8:9]
	s_branch .LBB6_1540
.LBB6_1537:
	s_mov_b64 s[0:1], -1
                                        ; implicit-def: $vgpr8_vgpr9
	s_branch .LBB6_1546
.LBB6_1538:
	s_mov_b64 s[0:1], -1
                                        ; implicit-def: $vgpr8_vgpr9
	s_branch .LBB6_1543
.LBB6_1539:
	s_mov_b64 s[0:1], -1
                                        ; implicit-def: $vgpr8_vgpr9
.LBB6_1540:
	s_andn2_b64 vcc, exec, s[0:1]
	s_cbranch_vccnz .LBB6_1542
; %bb.1541:
	global_load_dword v8, v[0:1], off
	s_waitcnt vmcnt(0)
	v_cvt_f64_i32_e32 v[8:9], v8
.LBB6_1542:
	s_mov_b64 s[0:1], 0
.LBB6_1543:
	s_andn2_b64 vcc, exec, s[0:1]
	s_cbranch_vccnz .LBB6_1545
; %bb.1544:
	global_load_sshort v8, v[0:1], off
	s_waitcnt vmcnt(0)
	v_cvt_f64_i32_e32 v[8:9], v8
.LBB6_1545:
	s_mov_b64 s[0:1], 0
.LBB6_1546:
	s_andn2_b64 vcc, exec, s[0:1]
	s_cbranch_vccnz .LBB6_1552
; %bb.1547:
	s_cmp_gt_i32 s24, 0
	s_cbranch_scc0 .LBB6_1549
; %bb.1548:
	global_load_sbyte v8, v[0:1], off
	s_mov_b64 s[0:1], 0
	s_waitcnt vmcnt(0)
	v_cvt_f64_i32_e32 v[8:9], v8
	s_branch .LBB6_1550
.LBB6_1549:
	s_mov_b64 s[0:1], -1
                                        ; implicit-def: $vgpr8_vgpr9
.LBB6_1550:
	s_andn2_b64 vcc, exec, s[0:1]
	s_cbranch_vccnz .LBB6_1552
; %bb.1551:
	global_load_ubyte v0, v[0:1], off
	s_waitcnt vmcnt(0)
	v_cvt_f64_u32_e32 v[8:9], v0
.LBB6_1552:
	s_mov_b64 s[10:11], -1
.LBB6_1553:
	s_andn2_b64 vcc, exec, s[10:11]
	s_cbranch_vccnz .LBB6_1634
; %bb.1554:
	s_waitcnt vmcnt(0)
	v_cmp_lt_f64_e32 vcc, s[14:15], v[8:9]
	v_mov_b32_e32 v0, 0
	v_mov_b32_e32 v1, 0x3ff00000
	s_and_saveexec_b64 s[0:1], vcc
	s_cbranch_execz .LBB6_1556
; %bb.1555:
	s_mov_b32 s2, 0x9abcaf48
	s_mov_b32 s3, 0x3e7ad7f2
	v_add_f64 v[0:1], v[8:9], s[2:3]
	v_div_scale_f64 v[8:9], s[2:3], v[0:1], v[0:1], s[14:15]
	v_div_scale_f64 v[15:16], vcc, s[14:15], v[0:1], s[14:15]
	v_rcp_f64_e32 v[11:12], v[8:9]
	v_fma_f64 v[13:14], -v[8:9], v[11:12], 1.0
	v_fma_f64 v[11:12], v[11:12], v[13:14], v[11:12]
	v_fma_f64 v[13:14], -v[8:9], v[11:12], 1.0
	v_fma_f64 v[11:12], v[11:12], v[13:14], v[11:12]
	v_mul_f64 v[13:14], v[15:16], v[11:12]
	v_fma_f64 v[8:9], -v[8:9], v[13:14], v[15:16]
	v_div_fmas_f64 v[8:9], v[8:9], v[11:12], v[13:14]
	v_div_fixup_f64 v[0:1], v[8:9], v[0:1], s[14:15]
.LBB6_1556:
	s_or_b64 exec, exec, s[0:1]
	v_mul_lo_u32 v12, s12, v10
	v_mov_b32_e32 v8, s9
	s_and_b32 s20, s33, 0xff
	s_cmp_lt_i32 s20, 11
	v_ashrrev_i32_e32 v9, 31, v12
	v_add_co_u32_e32 v10, vcc, s8, v12
	v_addc_co_u32_e32 v11, vcc, v8, v9, vcc
	s_cbranch_scc1 .LBB6_1680
; %bb.1557:
	s_and_b32 s13, 0xffff, s20
	s_mov_b64 s[14:15], -1
	s_mov_b64 s[2:3], 0
	s_cmp_gt_i32 s13, 25
	s_mov_b64 s[10:11], 0
	s_mov_b64 s[0:1], 0
	s_cbranch_scc0 .LBB6_1590
; %bb.1558:
	s_cmp_gt_i32 s13, 28
	s_cbranch_scc0 .LBB6_1573
; %bb.1559:
	s_cmp_gt_i32 s13, 43
	;; [unrolled: 3-line block ×3, first 2 shown]
	s_cbranch_scc0 .LBB6_1563
; %bb.1561:
	s_mov_b64 s[0:1], -1
	s_mov_b64 s[14:15], 0
	s_cmp_eq_u32 s13, 46
	s_cbranch_scc0 .LBB6_1563
; %bb.1562:
	v_cvt_f32_f64_e32 v8, v[6:7]
	s_movk_i32 s0, 0x7fff
	v_mov_b32_e32 v9, 0x7fc0
	s_mov_b64 s[10:11], -1
	v_bfe_u32 v13, v8, 16, 1
	v_cmp_o_f32_e32 vcc, v8, v8
	v_add3_u32 v8, v8, v13, s0
	v_cndmask_b32_sdwa v8, v9, v8, vcc dst_sel:DWORD dst_unused:UNUSED_PAD src0_sel:DWORD src1_sel:WORD_1
	global_store_dword v[10:11], v8, off
	s_mov_b64 s[0:1], 0
.LBB6_1563:
	s_and_b64 vcc, exec, s[14:15]
	s_cbranch_vccz .LBB6_1568
; %bb.1564:
	s_cmp_eq_u32 s13, 44
	s_mov_b64 s[0:1], -1
	s_cbranch_scc0 .LBB6_1568
; %bb.1565:
	v_cvt_f32_f64_e32 v8, v[6:7]
	s_movk_i32 s0, 0xff
	v_mov_b32_e32 v13, 0xff
	v_bfe_u32 v9, v8, 23, 8
	v_cmp_ne_u32_e32 vcc, s0, v9
	s_and_saveexec_b64 s[10:11], vcc
; %bb.1566:
	s_mov_b32 s0, 0x3fffff
	v_lshrrev_b32_e32 v13, 23, v8
	v_and_b32_e32 v14, 0x400000, v8
	v_and_or_b32 v8, v8, s0, v9
	v_cmp_ne_u32_e32 vcc, 0, v14
	v_cmp_ne_u32_e64 s[0:1], 0, v8
	s_and_b64 s[0:1], vcc, s[0:1]
	v_cndmask_b32_e64 v8, 0, 1, s[0:1]
	v_add_u32_e32 v13, v13, v8
; %bb.1567:
	s_or_b64 exec, exec, s[10:11]
	s_mov_b64 s[0:1], 0
	s_mov_b64 s[10:11], -1
	global_store_byte v[10:11], v13, off
.LBB6_1568:
	s_mov_b64 s[14:15], 0
.LBB6_1569:
	s_and_b64 vcc, exec, s[14:15]
	s_cbranch_vccz .LBB6_1572
; %bb.1570:
	s_cmp_eq_u32 s13, 29
	s_mov_b64 s[0:1], -1
	s_cbranch_scc0 .LBB6_1572
; %bb.1571:
	v_trunc_f64_e32 v[8:9], v[6:7]
	s_movk_i32 s0, 0xffe0
	s_mov_b64 s[10:11], -1
	v_ldexp_f64 v[13:14], v[8:9], s0
	s_mov_b32 s0, 0
	s_mov_b32 s1, 0xc1f00000
	v_floor_f64_e32 v[13:14], v[13:14]
	v_fma_f64 v[8:9], v[13:14], s[0:1], v[8:9]
	v_cvt_u32_f64_e32 v14, v[13:14]
	s_mov_b64 s[0:1], 0
	v_cvt_u32_f64_e32 v13, v[8:9]
	global_store_dwordx2 v[10:11], v[13:14], off
.LBB6_1572:
	s_mov_b64 s[14:15], 0
.LBB6_1573:
	s_and_b64 vcc, exec, s[14:15]
	s_cbranch_vccz .LBB6_1589
; %bb.1574:
	s_cmp_lt_i32 s13, 27
	s_mov_b64 s[10:11], -1
	s_cbranch_scc1 .LBB6_1580
; %bb.1575:
	v_cvt_u32_f64_e32 v8, v[6:7]
	s_cmp_gt_i32 s13, 27
	s_cbranch_scc0 .LBB6_1577
; %bb.1576:
	s_mov_b64 s[10:11], 0
	global_store_dword v[10:11], v8, off
.LBB6_1577:
	s_andn2_b64 vcc, exec, s[10:11]
	s_cbranch_vccnz .LBB6_1579
; %bb.1578:
	global_store_short v[10:11], v8, off
.LBB6_1579:
	s_mov_b64 s[10:11], 0
.LBB6_1580:
	s_andn2_b64 vcc, exec, s[10:11]
	s_cbranch_vccnz .LBB6_1588
; %bb.1581:
	v_cvt_f32_f64_e32 v8, v[6:7]
	s_mov_b32 s10, 0x43800000
	v_mov_b32_e32 v13, 0x80
	v_and_b32_e32 v9, 0x7fffffff, v8
	v_cmp_gt_u32_e32 vcc, s10, v9
	s_and_saveexec_b64 s[10:11], vcc
	s_cbranch_execz .LBB6_1587
; %bb.1582:
	s_mov_b32 s14, 0x3bffffff
	v_cmp_lt_u32_e32 vcc, s14, v9
	s_mov_b64 s[14:15], 0
                                        ; implicit-def: $vgpr9
	s_and_saveexec_b64 s[18:19], vcc
	s_xor_b64 s[18:19], exec, s[18:19]
	s_cbranch_execz .LBB6_2038
; %bb.1583:
	v_bfe_u32 v9, v8, 20, 1
	s_mov_b32 s21, 0x487ffff
	v_add3_u32 v9, v8, v9, s21
	s_mov_b64 s[14:15], exec
	v_lshrrev_b32_e32 v9, 20, v9
	s_andn2_saveexec_b64 s[18:19], s[18:19]
	s_cbranch_execnz .LBB6_2039
.LBB6_1584:
	s_or_b64 exec, exec, s[18:19]
	v_mov_b32_e32 v13, 0
	s_and_saveexec_b64 s[18:19], s[14:15]
.LBB6_1585:
	v_lshrrev_b32_e32 v8, 24, v8
	s_movk_i32 s14, 0x80
	v_and_or_b32 v13, v8, s14, v9
.LBB6_1586:
	s_or_b64 exec, exec, s[18:19]
.LBB6_1587:
	s_or_b64 exec, exec, s[10:11]
	global_store_byte v[10:11], v13, off
.LBB6_1588:
	s_mov_b64 s[10:11], -1
.LBB6_1589:
	s_mov_b64 s[14:15], 0
.LBB6_1590:
	s_and_b64 vcc, exec, s[14:15]
	s_cbranch_vccz .LBB6_1630
; %bb.1591:
	s_cmp_gt_i32 s13, 22
	s_mov_b64 s[2:3], -1
	s_cbranch_scc0 .LBB6_1623
; %bb.1592:
	s_cmp_lt_i32 s13, 24
	s_cbranch_scc1 .LBB6_1612
; %bb.1593:
	s_cmp_gt_i32 s13, 24
	s_cbranch_scc0 .LBB6_1601
; %bb.1594:
	v_cvt_f32_f64_e32 v8, v[6:7]
	s_mov_b32 s2, 0x47800000
	v_mov_b32_e32 v13, 0x80
	v_and_b32_e32 v9, 0x7fffffff, v8
	v_cmp_gt_u32_e32 vcc, s2, v9
	s_and_saveexec_b64 s[2:3], vcc
	s_cbranch_execz .LBB6_1600
; %bb.1595:
	s_mov_b32 s10, 0x37ffffff
	v_cmp_lt_u32_e32 vcc, s10, v9
	s_mov_b64 s[10:11], 0
                                        ; implicit-def: $vgpr9
	s_and_saveexec_b64 s[14:15], vcc
	s_xor_b64 s[14:15], exec, s[14:15]
	s_cbranch_execz .LBB6_2041
; %bb.1596:
	v_bfe_u32 v9, v8, 21, 1
	s_mov_b32 s18, 0x88fffff
	v_add3_u32 v9, v8, v9, s18
	s_mov_b64 s[10:11], exec
	v_lshrrev_b32_e32 v9, 21, v9
	s_andn2_saveexec_b64 s[14:15], s[14:15]
	s_cbranch_execnz .LBB6_2042
.LBB6_1597:
	s_or_b64 exec, exec, s[14:15]
	v_mov_b32_e32 v13, 0
	s_and_saveexec_b64 s[14:15], s[10:11]
.LBB6_1598:
	v_lshrrev_b32_e32 v8, 24, v8
	s_movk_i32 s10, 0x80
	v_and_or_b32 v13, v8, s10, v9
.LBB6_1599:
	s_or_b64 exec, exec, s[14:15]
.LBB6_1600:
	s_or_b64 exec, exec, s[2:3]
	s_mov_b64 s[2:3], 0
	global_store_byte v[10:11], v13, off
.LBB6_1601:
	s_and_b64 vcc, exec, s[2:3]
	s_cbranch_vccz .LBB6_1611
; %bb.1602:
	v_cvt_f32_f64_e32 v8, v[6:7]
	s_mov_b32 s2, 0x43f00000
                                        ; implicit-def: $vgpr9
	v_and_b32_e32 v13, 0x7fffffff, v8
	v_cmp_gt_u32_e32 vcc, s2, v13
	s_and_saveexec_b64 s[2:3], vcc
	s_xor_b64 s[2:3], exec, s[2:3]
	s_cbranch_execz .LBB6_1608
; %bb.1603:
	s_mov_b32 s10, 0x3c7fffff
	v_cmp_lt_u32_e32 vcc, s10, v13
                                        ; implicit-def: $vgpr9
	s_and_saveexec_b64 s[10:11], vcc
	s_xor_b64 s[10:11], exec, s[10:11]
; %bb.1604:
	v_bfe_u32 v9, v8, 20, 1
	s_mov_b32 s14, 0x407ffff
	v_add3_u32 v9, v8, v9, s14
	v_lshrrev_b32_e32 v13, 20, v9
	v_and_b32_e32 v9, 0xff00000, v9
	s_mov_b32 s14, 0x7f00000
	v_mov_b32_e32 v14, 0x7e
	v_cmp_ne_u32_e32 vcc, s14, v9
	v_cndmask_b32_e32 v9, v14, v13, vcc
; %bb.1605:
	s_andn2_saveexec_b64 s[10:11], s[10:11]
; %bb.1606:
	s_mov_b32 s14, 0x46800000
	v_add_f32_e64 v9, |v8|, s14
; %bb.1607:
	s_or_b64 exec, exec, s[10:11]
                                        ; implicit-def: $vgpr13
.LBB6_1608:
	s_andn2_saveexec_b64 s[2:3], s[2:3]
; %bb.1609:
	s_mov_b32 s10, 0x7f800000
	v_mov_b32_e32 v9, 0x7e
	v_mov_b32_e32 v14, 0x7f
	v_cmp_lt_u32_e32 vcc, s10, v13
	v_cndmask_b32_e32 v9, v9, v14, vcc
; %bb.1610:
	s_or_b64 exec, exec, s[2:3]
	v_lshrrev_b32_e32 v8, 24, v8
	s_movk_i32 s2, 0x80
	v_and_or_b32 v8, v8, s2, v9
	global_store_byte v[10:11], v8, off
.LBB6_1611:
	s_mov_b64 s[2:3], 0
.LBB6_1612:
	s_andn2_b64 vcc, exec, s[2:3]
	s_cbranch_vccnz .LBB6_1622
; %bb.1613:
	v_cvt_f32_f64_e32 v8, v[6:7]
	s_mov_b32 s2, 0x47800000
                                        ; implicit-def: $vgpr9
	v_and_b32_e32 v13, 0x7fffffff, v8
	v_cmp_gt_u32_e32 vcc, s2, v13
	s_and_saveexec_b64 s[2:3], vcc
	s_xor_b64 s[2:3], exec, s[2:3]
	s_cbranch_execz .LBB6_1619
; %bb.1614:
	s_mov_b32 s10, 0x387fffff
	v_cmp_lt_u32_e32 vcc, s10, v13
                                        ; implicit-def: $vgpr9
	s_and_saveexec_b64 s[10:11], vcc
	s_xor_b64 s[10:11], exec, s[10:11]
; %bb.1615:
	v_bfe_u32 v9, v8, 21, 1
	s_mov_b32 s14, 0x80fffff
	v_add3_u32 v9, v8, v9, s14
	v_lshrrev_b32_e32 v9, 21, v9
; %bb.1616:
	s_andn2_saveexec_b64 s[10:11], s[10:11]
; %bb.1617:
	s_mov_b32 s14, 0x43000000
	v_add_f32_e64 v9, |v8|, s14
; %bb.1618:
	s_or_b64 exec, exec, s[10:11]
                                        ; implicit-def: $vgpr13
.LBB6_1619:
	s_andn2_saveexec_b64 s[2:3], s[2:3]
; %bb.1620:
	s_mov_b32 s10, 0x7f800000
	v_mov_b32_e32 v9, 0x7c
	v_mov_b32_e32 v14, 0x7f
	v_cmp_lt_u32_e32 vcc, s10, v13
	v_cndmask_b32_e32 v9, v9, v14, vcc
; %bb.1621:
	s_or_b64 exec, exec, s[2:3]
	v_lshrrev_b32_e32 v8, 24, v8
	s_movk_i32 s2, 0x80
	v_and_or_b32 v8, v8, s2, v9
	global_store_byte v[10:11], v8, off
.LBB6_1622:
	s_mov_b64 s[2:3], 0
	s_mov_b64 s[10:11], -1
.LBB6_1623:
	s_andn2_b64 vcc, exec, s[2:3]
	s_mov_b64 s[2:3], 0
	s_cbranch_vccnz .LBB6_1630
; %bb.1624:
	s_cmp_gt_i32 s13, 14
	s_mov_b64 s[14:15], -1
	s_cbranch_scc0 .LBB6_1628
; %bb.1625:
	s_cmp_eq_u32 s13, 15
	s_mov_b64 s[0:1], -1
	s_cbranch_scc0 .LBB6_1627
; %bb.1626:
	v_cvt_f32_f64_e32 v8, v[6:7]
	s_movk_i32 s0, 0x7fff
	v_mov_b32_e32 v9, 0x7fc0
	s_mov_b64 s[10:11], -1
	v_bfe_u32 v13, v8, 16, 1
	v_cmp_o_f32_e32 vcc, v8, v8
	v_add3_u32 v8, v8, v13, s0
	v_cndmask_b32_sdwa v8, v9, v8, vcc dst_sel:DWORD dst_unused:UNUSED_PAD src0_sel:DWORD src1_sel:WORD_1
	global_store_short v[10:11], v8, off
	s_mov_b64 s[0:1], 0
.LBB6_1627:
	s_mov_b64 s[14:15], 0
.LBB6_1628:
	s_and_b64 vcc, exec, s[14:15]
	s_cbranch_vccz .LBB6_1630
; %bb.1629:
	s_cmp_lg_u32 s13, 11
	s_mov_b64 s[2:3], -1
	s_cselect_b64 s[0:1], -1, 0
.LBB6_1630:
	s_and_b64 vcc, exec, s[0:1]
	s_cbranch_vccnz .LBB6_2040
; %bb.1631:
	s_andn2_b64 vcc, exec, s[2:3]
	s_cbranch_vccnz .LBB6_1633
.LBB6_1632:
	v_cmp_neq_f64_e32 vcc, 0, v[6:7]
	s_mov_b64 s[10:11], -1
	v_cndmask_b32_e64 v8, 0, 1, vcc
	global_store_byte v[10:11], v8, off
.LBB6_1633:
	s_mov_b64 s[0:1], 0
	s_branch .LBB6_1681
.LBB6_1634:
	s_mov_b64 s[0:1], 0
                                        ; implicit-def: $sgpr20
                                        ; implicit-def: $vgpr4_vgpr5
                                        ; implicit-def: $vgpr0_vgpr1
.LBB6_1635:
	s_mov_b64 s[2:3], 0
.LBB6_1636:
	s_andn2_b64 s[6:7], s[6:7], exec
	s_and_b64 s[8:9], s[16:17], exec
	s_and_b64 s[0:1], s[0:1], exec
	;; [unrolled: 1-line block ×3, first 2 shown]
	s_or_b64 s[6:7], s[6:7], s[8:9]
.LBB6_1637:
	s_or_b64 exec, exec, s[4:5]
	s_and_saveexec_b64 s[4:5], s[6:7]
	s_cbranch_execz .LBB6_1640
; %bb.1638:
	; divergent unreachable
	s_or_b64 exec, exec, s[4:5]
	s_and_saveexec_b64 s[4:5], s[2:3]
	s_xor_b64 s[2:3], exec, s[4:5]
	s_cbranch_execnz .LBB6_1641
.LBB6_1639:
	s_or_b64 exec, exec, s[2:3]
	s_and_saveexec_b64 s[2:3], s[0:1]
	s_cbranch_execnz .LBB6_1642
	s_branch .LBB6_1679
.LBB6_1640:
	s_or_b64 exec, exec, s[4:5]
	s_and_saveexec_b64 s[4:5], s[2:3]
	s_xor_b64 s[2:3], exec, s[4:5]
	s_cbranch_execz .LBB6_1639
.LBB6_1641:
	v_cmp_neq_f64_e32 vcc, 0, v[0:1]
	s_waitcnt vmcnt(0)
	v_cndmask_b32_e64 v2, 0, 1, vcc
	global_store_byte v[4:5], v2, off
	s_or_b64 exec, exec, s[2:3]
	s_and_saveexec_b64 s[2:3], s[0:1]
	s_cbranch_execz .LBB6_1679
.LBB6_1642:
	s_sext_i32_i16 s2, s20
	s_cmp_lt_i32 s2, 5
	s_mov_b64 s[0:1], -1
	s_cbranch_scc1 .LBB6_1663
; %bb.1643:
	s_cmp_lt_i32 s2, 8
	s_cbranch_scc1 .LBB6_1653
; %bb.1644:
	s_cmp_lt_i32 s2, 9
	s_cbranch_scc1 .LBB6_1650
; %bb.1645:
	s_cmp_gt_i32 s2, 9
	s_cbranch_scc0 .LBB6_1647
; %bb.1646:
	s_waitcnt vmcnt(0)
	v_mov_b32_e32 v2, 0
	v_mov_b32_e32 v3, v2
	global_store_dwordx4 v[4:5], v[0:3], off
	s_mov_b64 s[0:1], 0
.LBB6_1647:
	s_andn2_b64 vcc, exec, s[0:1]
	s_cbranch_vccnz .LBB6_1649
; %bb.1648:
	s_waitcnt vmcnt(0)
	v_cvt_f32_f64_e32 v2, v[0:1]
	v_mov_b32_e32 v3, 0
	global_store_dwordx2 v[4:5], v[2:3], off
.LBB6_1649:
	s_mov_b64 s[0:1], 0
.LBB6_1650:
	s_andn2_b64 vcc, exec, s[0:1]
	s_cbranch_vccnz .LBB6_1652
; %bb.1651:
	s_movk_i32 s0, 0x1ff
	s_waitcnt vmcnt(0)
	v_and_or_b32 v2, v1, s0, v0
	v_cmp_ne_u32_e32 vcc, 0, v2
	v_cndmask_b32_e64 v2, 0, 1, vcc
	v_lshrrev_b32_e32 v3, 8, v1
	s_movk_i32 s0, 0xffe
	v_bfe_u32 v6, v1, 20, 11
	v_and_or_b32 v2, v3, s0, v2
	v_sub_u32_e32 v7, 0x3f1, v6
	v_or_b32_e32 v3, 0x1000, v2
	v_med3_i32 v7, v7, 0, 13
	v_lshrrev_b32_e32 v8, v7, v3
	v_lshlrev_b32_e32 v7, v7, v8
	v_cmp_ne_u32_e32 vcc, v7, v3
	v_cndmask_b32_e64 v3, 0, 1, vcc
	v_add_u32_e32 v6, 0xfffffc10, v6
	v_or_b32_e32 v3, v8, v3
	v_lshl_or_b32 v7, v6, 12, v2
	v_cmp_gt_i32_e32 vcc, 1, v6
	v_cndmask_b32_e32 v3, v7, v3, vcc
	v_and_b32_e32 v7, 7, v3
	v_cmp_lt_i32_e32 vcc, 5, v7
	v_cndmask_b32_e64 v8, 0, 1, vcc
	v_cmp_eq_u32_e32 vcc, 3, v7
	v_cndmask_b32_e64 v7, 0, 1, vcc
	v_or_b32_e32 v7, v7, v8
	v_lshrrev_b32_e32 v3, 2, v3
	v_add_u32_e32 v3, v3, v7
	v_mov_b32_e32 v7, 0x7c00
	v_cmp_gt_i32_e32 vcc, 31, v6
	v_cndmask_b32_e32 v3, v7, v3, vcc
	v_mov_b32_e32 v8, 0x7e00
	v_cmp_ne_u32_e32 vcc, 0, v2
	s_movk_i32 s0, 0x40f
	v_cndmask_b32_e32 v2, v7, v8, vcc
	v_cmp_eq_u32_e32 vcc, s0, v6
	v_cndmask_b32_e32 v2, v3, v2, vcc
	v_lshrrev_b32_e32 v3, 16, v1
	s_mov_b32 s0, 0x8000
	v_and_or_b32 v2, v3, s0, v2
	v_and_b32_e32 v2, 0xffff, v2
	global_store_dword v[4:5], v2, off
.LBB6_1652:
	s_mov_b64 s[0:1], 0
.LBB6_1653:
	s_andn2_b64 vcc, exec, s[0:1]
	s_cbranch_vccnz .LBB6_1662
; %bb.1654:
	s_sext_i32_i16 s2, s20
	s_cmp_lt_i32 s2, 6
	s_mov_b64 s[0:1], -1
	s_cbranch_scc1 .LBB6_1660
; %bb.1655:
	s_cmp_gt_i32 s2, 6
	s_cbranch_scc0 .LBB6_1657
; %bb.1656:
	global_store_dwordx2 v[4:5], v[0:1], off
	s_mov_b64 s[0:1], 0
.LBB6_1657:
	s_andn2_b64 vcc, exec, s[0:1]
	s_cbranch_vccnz .LBB6_1659
; %bb.1658:
	s_waitcnt vmcnt(0)
	v_cvt_f32_f64_e32 v2, v[0:1]
	global_store_dword v[4:5], v2, off
.LBB6_1659:
	s_mov_b64 s[0:1], 0
.LBB6_1660:
	s_andn2_b64 vcc, exec, s[0:1]
	s_cbranch_vccnz .LBB6_1662
; %bb.1661:
	s_movk_i32 s0, 0x1ff
	s_waitcnt vmcnt(0)
	v_and_or_b32 v2, v1, s0, v0
	v_cmp_ne_u32_e32 vcc, 0, v2
	v_cndmask_b32_e64 v2, 0, 1, vcc
	v_lshrrev_b32_e32 v3, 8, v1
	s_movk_i32 s0, 0xffe
	v_bfe_u32 v6, v1, 20, 11
	v_and_or_b32 v2, v3, s0, v2
	v_sub_u32_e32 v7, 0x3f1, v6
	v_or_b32_e32 v3, 0x1000, v2
	v_med3_i32 v7, v7, 0, 13
	v_lshrrev_b32_e32 v8, v7, v3
	v_lshlrev_b32_e32 v7, v7, v8
	v_cmp_ne_u32_e32 vcc, v7, v3
	v_cndmask_b32_e64 v3, 0, 1, vcc
	v_add_u32_e32 v6, 0xfffffc10, v6
	v_or_b32_e32 v3, v8, v3
	v_lshl_or_b32 v7, v6, 12, v2
	v_cmp_gt_i32_e32 vcc, 1, v6
	v_cndmask_b32_e32 v3, v7, v3, vcc
	v_and_b32_e32 v7, 7, v3
	v_cmp_lt_i32_e32 vcc, 5, v7
	v_cndmask_b32_e64 v8, 0, 1, vcc
	v_cmp_eq_u32_e32 vcc, 3, v7
	v_cndmask_b32_e64 v7, 0, 1, vcc
	v_or_b32_e32 v7, v7, v8
	v_lshrrev_b32_e32 v3, 2, v3
	v_add_u32_e32 v3, v3, v7
	v_mov_b32_e32 v7, 0x7c00
	v_cmp_gt_i32_e32 vcc, 31, v6
	v_cndmask_b32_e32 v3, v7, v3, vcc
	v_mov_b32_e32 v8, 0x7e00
	v_cmp_ne_u32_e32 vcc, 0, v2
	s_movk_i32 s0, 0x40f
	v_cndmask_b32_e32 v2, v7, v8, vcc
	v_cmp_eq_u32_e32 vcc, s0, v6
	v_cndmask_b32_e32 v2, v3, v2, vcc
	v_lshrrev_b32_e32 v3, 16, v1
	s_mov_b32 s0, 0x8000
	v_and_or_b32 v2, v3, s0, v2
	global_store_short v[4:5], v2, off
.LBB6_1662:
	s_mov_b64 s[0:1], 0
.LBB6_1663:
	s_andn2_b64 vcc, exec, s[0:1]
	s_cbranch_vccnz .LBB6_1679
; %bb.1664:
	s_sext_i32_i16 s2, s20
	s_cmp_lt_i32 s2, 2
	s_mov_b64 s[0:1], -1
	s_cbranch_scc1 .LBB6_1674
; %bb.1665:
	s_cmp_lt_i32 s2, 3
	s_cbranch_scc1 .LBB6_1671
; %bb.1666:
	s_cmp_gt_i32 s2, 3
	s_cbranch_scc0 .LBB6_1668
; %bb.1667:
	s_waitcnt vmcnt(0)
	v_trunc_f64_e32 v[2:3], v[0:1]
	s_movk_i32 s0, 0xffe0
	v_ldexp_f64 v[6:7], v[2:3], s0
	s_mov_b32 s0, 0
	s_mov_b32 s1, 0xc1f00000
	v_floor_f64_e32 v[6:7], v[6:7]
	v_fma_f64 v[2:3], v[6:7], s[0:1], v[2:3]
	v_cvt_i32_f64_e32 v7, v[6:7]
	s_mov_b64 s[0:1], 0
	v_cvt_u32_f64_e32 v6, v[2:3]
	global_store_dwordx2 v[4:5], v[6:7], off
.LBB6_1668:
	s_andn2_b64 vcc, exec, s[0:1]
	s_cbranch_vccnz .LBB6_1670
; %bb.1669:
	s_waitcnt vmcnt(0)
	v_cvt_i32_f64_e32 v2, v[0:1]
	global_store_dword v[4:5], v2, off
.LBB6_1670:
	s_mov_b64 s[0:1], 0
.LBB6_1671:
	s_andn2_b64 vcc, exec, s[0:1]
	s_cbranch_vccnz .LBB6_1673
; %bb.1672:
	s_waitcnt vmcnt(0)
	v_cvt_i32_f64_e32 v2, v[0:1]
	global_store_short v[4:5], v2, off
.LBB6_1673:
	s_mov_b64 s[0:1], 0
.LBB6_1674:
	s_andn2_b64 vcc, exec, s[0:1]
	s_cbranch_vccnz .LBB6_1679
; %bb.1675:
	s_sext_i32_i16 s0, s20
	s_cmp_gt_i32 s0, 0
	s_mov_b64 s[0:1], -1
	s_cbranch_scc0 .LBB6_1677
; %bb.1676:
	s_waitcnt vmcnt(0)
	v_cvt_i32_f64_e32 v2, v[0:1]
	s_mov_b64 s[0:1], 0
	global_store_byte v[4:5], v2, off
.LBB6_1677:
	s_andn2_b64 vcc, exec, s[0:1]
	s_cbranch_vccnz .LBB6_1679
; %bb.1678:
	v_trunc_f64_e32 v[0:1], v[0:1]
	s_movk_i32 s0, 0xffe0
	s_waitcnt vmcnt(0)
	v_ldexp_f64 v[2:3], v[0:1], s0
	s_mov_b32 s0, 0
	s_mov_b32 s1, 0xc1f00000
	v_floor_f64_e32 v[2:3], v[2:3]
	v_fma_f64 v[0:1], v[2:3], s[0:1], v[0:1]
	v_cvt_u32_f64_e32 v0, v[0:1]
	global_store_byte v[4:5], v0, off
	s_endpgm
.LBB6_1679:
	s_endpgm
.LBB6_1680:
	s_mov_b64 s[0:1], -1
	s_mov_b64 s[10:11], 0
.LBB6_1681:
	s_and_b64 vcc, exec, s[0:1]
	s_cbranch_vccz .LBB6_1720
; %bb.1682:
	s_and_b32 s2, 0xffff, s20
	s_cmp_lt_i32 s2, 5
	s_mov_b64 s[0:1], -1
	s_cbranch_scc1 .LBB6_1703
; %bb.1683:
	s_cmp_lt_i32 s2, 8
	s_cbranch_scc1 .LBB6_1693
; %bb.1684:
	s_cmp_lt_i32 s2, 9
	s_cbranch_scc1 .LBB6_1690
; %bb.1685:
	s_cmp_gt_i32 s2, 9
	s_cbranch_scc0 .LBB6_1687
; %bb.1686:
	v_mov_b32_e32 v8, 0
	v_mov_b32_e32 v9, v8
	global_store_dwordx4 v[10:11], v[6:9], off
	s_mov_b64 s[0:1], 0
.LBB6_1687:
	s_andn2_b64 vcc, exec, s[0:1]
	s_cbranch_vccnz .LBB6_1689
; %bb.1688:
	v_cvt_f32_f64_e32 v8, v[6:7]
	v_mov_b32_e32 v9, 0
	global_store_dwordx2 v[10:11], v[8:9], off
.LBB6_1689:
	s_mov_b64 s[0:1], 0
.LBB6_1690:
	s_andn2_b64 vcc, exec, s[0:1]
	s_cbranch_vccnz .LBB6_1692
; %bb.1691:
	s_movk_i32 s0, 0x1ff
	v_and_or_b32 v8, v7, s0, v6
	v_cmp_ne_u32_e32 vcc, 0, v8
	v_cndmask_b32_e64 v8, 0, 1, vcc
	v_lshrrev_b32_e32 v9, 8, v7
	s_movk_i32 s0, 0xffe
	v_bfe_u32 v13, v7, 20, 11
	v_and_or_b32 v8, v9, s0, v8
	v_sub_u32_e32 v14, 0x3f1, v13
	v_or_b32_e32 v9, 0x1000, v8
	v_med3_i32 v14, v14, 0, 13
	v_lshrrev_b32_e32 v15, v14, v9
	v_lshlrev_b32_e32 v14, v14, v15
	v_cmp_ne_u32_e32 vcc, v14, v9
	v_cndmask_b32_e64 v9, 0, 1, vcc
	v_add_u32_e32 v13, 0xfffffc10, v13
	v_or_b32_e32 v9, v15, v9
	v_lshl_or_b32 v14, v13, 12, v8
	v_cmp_gt_i32_e32 vcc, 1, v13
	v_cndmask_b32_e32 v9, v14, v9, vcc
	v_and_b32_e32 v14, 7, v9
	v_cmp_lt_i32_e32 vcc, 5, v14
	v_cndmask_b32_e64 v15, 0, 1, vcc
	v_cmp_eq_u32_e32 vcc, 3, v14
	v_cndmask_b32_e64 v14, 0, 1, vcc
	v_or_b32_e32 v14, v14, v15
	v_lshrrev_b32_e32 v9, 2, v9
	v_add_u32_e32 v9, v9, v14
	v_mov_b32_e32 v14, 0x7c00
	v_cmp_gt_i32_e32 vcc, 31, v13
	v_cndmask_b32_e32 v9, v14, v9, vcc
	v_mov_b32_e32 v15, 0x7e00
	v_cmp_ne_u32_e32 vcc, 0, v8
	s_movk_i32 s0, 0x40f
	v_cndmask_b32_e32 v8, v14, v15, vcc
	v_cmp_eq_u32_e32 vcc, s0, v13
	v_cndmask_b32_e32 v8, v9, v8, vcc
	v_lshrrev_b32_e32 v9, 16, v7
	s_mov_b32 s0, 0x8000
	v_and_or_b32 v8, v9, s0, v8
	v_and_b32_e32 v8, 0xffff, v8
	global_store_dword v[10:11], v8, off
.LBB6_1692:
	s_mov_b64 s[0:1], 0
.LBB6_1693:
	s_andn2_b64 vcc, exec, s[0:1]
	s_cbranch_vccnz .LBB6_1702
; %bb.1694:
	s_cmp_lt_i32 s2, 6
	s_mov_b64 s[0:1], -1
	s_cbranch_scc1 .LBB6_1700
; %bb.1695:
	s_cmp_gt_i32 s2, 6
	s_cbranch_scc0 .LBB6_1697
; %bb.1696:
	global_store_dwordx2 v[10:11], v[6:7], off
	s_mov_b64 s[0:1], 0
.LBB6_1697:
	s_andn2_b64 vcc, exec, s[0:1]
	s_cbranch_vccnz .LBB6_1699
; %bb.1698:
	v_cvt_f32_f64_e32 v8, v[6:7]
	global_store_dword v[10:11], v8, off
.LBB6_1699:
	s_mov_b64 s[0:1], 0
.LBB6_1700:
	s_andn2_b64 vcc, exec, s[0:1]
	s_cbranch_vccnz .LBB6_1702
; %bb.1701:
	s_movk_i32 s0, 0x1ff
	v_and_or_b32 v8, v7, s0, v6
	v_cmp_ne_u32_e32 vcc, 0, v8
	v_cndmask_b32_e64 v8, 0, 1, vcc
	v_lshrrev_b32_e32 v9, 8, v7
	s_movk_i32 s0, 0xffe
	v_bfe_u32 v13, v7, 20, 11
	v_and_or_b32 v8, v9, s0, v8
	v_sub_u32_e32 v14, 0x3f1, v13
	v_or_b32_e32 v9, 0x1000, v8
	v_med3_i32 v14, v14, 0, 13
	v_lshrrev_b32_e32 v15, v14, v9
	v_lshlrev_b32_e32 v14, v14, v15
	v_cmp_ne_u32_e32 vcc, v14, v9
	v_cndmask_b32_e64 v9, 0, 1, vcc
	v_add_u32_e32 v13, 0xfffffc10, v13
	v_or_b32_e32 v9, v15, v9
	v_lshl_or_b32 v14, v13, 12, v8
	v_cmp_gt_i32_e32 vcc, 1, v13
	v_cndmask_b32_e32 v9, v14, v9, vcc
	v_and_b32_e32 v14, 7, v9
	v_cmp_lt_i32_e32 vcc, 5, v14
	v_cndmask_b32_e64 v15, 0, 1, vcc
	v_cmp_eq_u32_e32 vcc, 3, v14
	v_cndmask_b32_e64 v14, 0, 1, vcc
	v_or_b32_e32 v14, v14, v15
	v_lshrrev_b32_e32 v9, 2, v9
	v_add_u32_e32 v9, v9, v14
	v_mov_b32_e32 v14, 0x7c00
	v_cmp_gt_i32_e32 vcc, 31, v13
	v_cndmask_b32_e32 v9, v14, v9, vcc
	v_mov_b32_e32 v15, 0x7e00
	v_cmp_ne_u32_e32 vcc, 0, v8
	s_movk_i32 s0, 0x40f
	v_cndmask_b32_e32 v8, v14, v15, vcc
	v_cmp_eq_u32_e32 vcc, s0, v13
	v_cndmask_b32_e32 v8, v9, v8, vcc
	v_lshrrev_b32_e32 v9, 16, v7
	s_mov_b32 s0, 0x8000
	v_and_or_b32 v8, v9, s0, v8
	global_store_short v[10:11], v8, off
.LBB6_1702:
	s_mov_b64 s[0:1], 0
.LBB6_1703:
	s_andn2_b64 vcc, exec, s[0:1]
	s_cbranch_vccnz .LBB6_1719
; %bb.1704:
	s_cmp_lt_i32 s2, 2
	s_mov_b64 s[0:1], -1
	s_cbranch_scc1 .LBB6_1714
; %bb.1705:
	s_cmp_lt_i32 s2, 3
	s_cbranch_scc1 .LBB6_1711
; %bb.1706:
	s_cmp_gt_i32 s2, 3
	s_cbranch_scc0 .LBB6_1708
; %bb.1707:
	v_trunc_f64_e32 v[8:9], v[6:7]
	s_movk_i32 s0, 0xffe0
	v_ldexp_f64 v[13:14], v[8:9], s0
	s_mov_b32 s0, 0
	s_mov_b32 s1, 0xc1f00000
	v_floor_f64_e32 v[13:14], v[13:14]
	v_fma_f64 v[8:9], v[13:14], s[0:1], v[8:9]
	v_cvt_i32_f64_e32 v14, v[13:14]
	s_mov_b64 s[0:1], 0
	v_cvt_u32_f64_e32 v13, v[8:9]
	global_store_dwordx2 v[10:11], v[13:14], off
.LBB6_1708:
	s_andn2_b64 vcc, exec, s[0:1]
	s_cbranch_vccnz .LBB6_1710
; %bb.1709:
	v_cvt_i32_f64_e32 v8, v[6:7]
	global_store_dword v[10:11], v8, off
.LBB6_1710:
	s_mov_b64 s[0:1], 0
.LBB6_1711:
	s_andn2_b64 vcc, exec, s[0:1]
	s_cbranch_vccnz .LBB6_1713
; %bb.1712:
	v_cvt_i32_f64_e32 v8, v[6:7]
	global_store_short v[10:11], v8, off
.LBB6_1713:
	s_mov_b64 s[0:1], 0
.LBB6_1714:
	s_andn2_b64 vcc, exec, s[0:1]
	s_cbranch_vccnz .LBB6_1719
; %bb.1715:
	s_cmp_gt_i32 s2, 0
	s_mov_b64 s[0:1], -1
	s_cbranch_scc0 .LBB6_1717
; %bb.1716:
	v_cvt_i32_f64_e32 v8, v[6:7]
	s_mov_b64 s[0:1], 0
	global_store_byte v[10:11], v8, off
.LBB6_1717:
	s_andn2_b64 vcc, exec, s[0:1]
	s_cbranch_vccnz .LBB6_1719
; %bb.1718:
	v_trunc_f64_e32 v[6:7], v[6:7]
	s_movk_i32 s0, 0xffe0
	v_ldexp_f64 v[8:9], v[6:7], s0
	s_mov_b32 s0, 0
	s_mov_b32 s1, 0xc1f00000
	v_floor_f64_e32 v[8:9], v[8:9]
	v_fma_f64 v[6:7], v[8:9], s[0:1], v[6:7]
	v_cvt_u32_f64_e32 v6, v[6:7]
	global_store_byte v[10:11], v6, off
.LBB6_1719:
	s_mov_b64 s[10:11], -1
.LBB6_1720:
	s_andn2_b64 vcc, exec, s[10:11]
	s_cbranch_vccnz .LBB6_2035
; %bb.1721:
	s_lshl_b32 s18, s12, 7
	v_add_u32_e32 v10, s18, v12
	v_ashrrev_i32_e32 v6, 31, v10
	v_mov_b32_e32 v7, s9
	v_add_co_u32_e32 v8, vcc, s8, v10
	s_cmp_lt_i32 s20, 11
	v_addc_co_u32_e32 v9, vcc, v7, v6, vcc
	s_cbranch_scc1 .LBB6_1799
; %bb.1722:
	s_and_b32 s19, 0xffff, s20
	s_mov_b64 s[12:13], -1
	s_mov_b64 s[2:3], 0
	s_cmp_gt_i32 s19, 25
	s_mov_b64 s[10:11], 0
	s_mov_b64 s[0:1], 0
	s_cbranch_scc0 .LBB6_1755
; %bb.1723:
	s_cmp_gt_i32 s19, 28
	s_cbranch_scc0 .LBB6_1738
; %bb.1724:
	s_cmp_gt_i32 s19, 43
	;; [unrolled: 3-line block ×3, first 2 shown]
	s_cbranch_scc0 .LBB6_1728
; %bb.1726:
	s_mov_b64 s[0:1], -1
	s_mov_b64 s[12:13], 0
	s_cmp_eq_u32 s19, 46
	s_cbranch_scc0 .LBB6_1728
; %bb.1727:
	v_cvt_f32_f64_e32 v6, v[4:5]
	s_movk_i32 s0, 0x7fff
	v_mov_b32_e32 v7, 0x7fc0
	s_mov_b64 s[10:11], -1
	v_bfe_u32 v11, v6, 16, 1
	v_cmp_o_f32_e32 vcc, v6, v6
	v_add3_u32 v6, v6, v11, s0
	v_cndmask_b32_sdwa v6, v7, v6, vcc dst_sel:DWORD dst_unused:UNUSED_PAD src0_sel:DWORD src1_sel:WORD_1
	global_store_dword v[8:9], v6, off
	s_mov_b64 s[0:1], 0
.LBB6_1728:
	s_and_b64 vcc, exec, s[12:13]
	s_cbranch_vccz .LBB6_1733
; %bb.1729:
	s_cmp_eq_u32 s19, 44
	s_mov_b64 s[0:1], -1
	s_cbranch_scc0 .LBB6_1733
; %bb.1730:
	v_cvt_f32_f64_e32 v6, v[4:5]
	s_movk_i32 s0, 0xff
	v_mov_b32_e32 v11, 0xff
	v_bfe_u32 v7, v6, 23, 8
	v_cmp_ne_u32_e32 vcc, s0, v7
	s_and_saveexec_b64 s[10:11], vcc
; %bb.1731:
	s_mov_b32 s0, 0x3fffff
	v_lshrrev_b32_e32 v11, 23, v6
	v_and_b32_e32 v12, 0x400000, v6
	v_and_or_b32 v6, v6, s0, v7
	v_cmp_ne_u32_e32 vcc, 0, v12
	v_cmp_ne_u32_e64 s[0:1], 0, v6
	s_and_b64 s[0:1], vcc, s[0:1]
	v_cndmask_b32_e64 v6, 0, 1, s[0:1]
	v_add_u32_e32 v11, v11, v6
; %bb.1732:
	s_or_b64 exec, exec, s[10:11]
	s_mov_b64 s[0:1], 0
	s_mov_b64 s[10:11], -1
	global_store_byte v[8:9], v11, off
.LBB6_1733:
	s_mov_b64 s[12:13], 0
.LBB6_1734:
	s_and_b64 vcc, exec, s[12:13]
	s_cbranch_vccz .LBB6_1737
; %bb.1735:
	s_cmp_eq_u32 s19, 29
	s_mov_b64 s[0:1], -1
	s_cbranch_scc0 .LBB6_1737
; %bb.1736:
	v_trunc_f64_e32 v[6:7], v[4:5]
	s_movk_i32 s0, 0xffe0
	s_mov_b64 s[10:11], -1
	v_ldexp_f64 v[11:12], v[6:7], s0
	s_mov_b32 s0, 0
	s_mov_b32 s1, 0xc1f00000
	v_floor_f64_e32 v[11:12], v[11:12]
	v_fma_f64 v[6:7], v[11:12], s[0:1], v[6:7]
	v_cvt_u32_f64_e32 v12, v[11:12]
	s_mov_b64 s[0:1], 0
	v_cvt_u32_f64_e32 v11, v[6:7]
	global_store_dwordx2 v[8:9], v[11:12], off
.LBB6_1737:
	s_mov_b64 s[12:13], 0
.LBB6_1738:
	s_and_b64 vcc, exec, s[12:13]
	s_cbranch_vccz .LBB6_1754
; %bb.1739:
	s_cmp_lt_i32 s19, 27
	s_mov_b64 s[10:11], -1
	s_cbranch_scc1 .LBB6_1745
; %bb.1740:
	v_cvt_u32_f64_e32 v6, v[4:5]
	s_cmp_gt_i32 s19, 27
	s_cbranch_scc0 .LBB6_1742
; %bb.1741:
	s_mov_b64 s[10:11], 0
	global_store_dword v[8:9], v6, off
.LBB6_1742:
	s_andn2_b64 vcc, exec, s[10:11]
	s_cbranch_vccnz .LBB6_1744
; %bb.1743:
	global_store_short v[8:9], v6, off
.LBB6_1744:
	s_mov_b64 s[10:11], 0
.LBB6_1745:
	s_andn2_b64 vcc, exec, s[10:11]
	s_cbranch_vccnz .LBB6_1753
; %bb.1746:
	v_cvt_f32_f64_e32 v6, v[4:5]
	s_mov_b32 s10, 0x43800000
	v_mov_b32_e32 v11, 0x80
	v_and_b32_e32 v7, 0x7fffffff, v6
	v_cmp_gt_u32_e32 vcc, s10, v7
	s_and_saveexec_b64 s[10:11], vcc
	s_cbranch_execz .LBB6_1752
; %bb.1747:
	s_mov_b32 s12, 0x3bffffff
	v_cmp_lt_u32_e32 vcc, s12, v7
	s_mov_b64 s[12:13], 0
                                        ; implicit-def: $vgpr7
	s_and_saveexec_b64 s[14:15], vcc
	s_xor_b64 s[14:15], exec, s[14:15]
	s_cbranch_execz .LBB6_2043
; %bb.1748:
	v_bfe_u32 v7, v6, 20, 1
	s_mov_b32 s21, 0x487ffff
	v_add3_u32 v7, v6, v7, s21
	s_mov_b64 s[12:13], exec
	v_lshrrev_b32_e32 v7, 20, v7
	s_andn2_saveexec_b64 s[14:15], s[14:15]
	s_cbranch_execnz .LBB6_2044
.LBB6_1749:
	s_or_b64 exec, exec, s[14:15]
	v_mov_b32_e32 v11, 0
	s_and_saveexec_b64 s[14:15], s[12:13]
.LBB6_1750:
	v_lshrrev_b32_e32 v6, 24, v6
	s_movk_i32 s12, 0x80
	v_and_or_b32 v11, v6, s12, v7
.LBB6_1751:
	s_or_b64 exec, exec, s[14:15]
.LBB6_1752:
	s_or_b64 exec, exec, s[10:11]
	global_store_byte v[8:9], v11, off
.LBB6_1753:
	s_mov_b64 s[10:11], -1
.LBB6_1754:
	s_mov_b64 s[12:13], 0
.LBB6_1755:
	s_and_b64 vcc, exec, s[12:13]
	s_cbranch_vccz .LBB6_1795
; %bb.1756:
	s_cmp_gt_i32 s19, 22
	s_mov_b64 s[2:3], -1
	s_cbranch_scc0 .LBB6_1788
; %bb.1757:
	s_cmp_lt_i32 s19, 24
	s_cbranch_scc1 .LBB6_1777
; %bb.1758:
	s_cmp_gt_i32 s19, 24
	s_cbranch_scc0 .LBB6_1766
; %bb.1759:
	v_cvt_f32_f64_e32 v6, v[4:5]
	s_mov_b32 s2, 0x47800000
	v_mov_b32_e32 v11, 0x80
	v_and_b32_e32 v7, 0x7fffffff, v6
	v_cmp_gt_u32_e32 vcc, s2, v7
	s_and_saveexec_b64 s[2:3], vcc
	s_cbranch_execz .LBB6_1765
; %bb.1760:
	s_mov_b32 s10, 0x37ffffff
	v_cmp_lt_u32_e32 vcc, s10, v7
	s_mov_b64 s[10:11], 0
                                        ; implicit-def: $vgpr7
	s_and_saveexec_b64 s[12:13], vcc
	s_xor_b64 s[12:13], exec, s[12:13]
	s_cbranch_execz .LBB6_2046
; %bb.1761:
	v_bfe_u32 v7, v6, 21, 1
	s_mov_b32 s14, 0x88fffff
	v_add3_u32 v7, v6, v7, s14
	s_mov_b64 s[10:11], exec
	v_lshrrev_b32_e32 v7, 21, v7
	s_andn2_saveexec_b64 s[12:13], s[12:13]
	s_cbranch_execnz .LBB6_2047
.LBB6_1762:
	s_or_b64 exec, exec, s[12:13]
	v_mov_b32_e32 v11, 0
	s_and_saveexec_b64 s[12:13], s[10:11]
.LBB6_1763:
	v_lshrrev_b32_e32 v6, 24, v6
	s_movk_i32 s10, 0x80
	v_and_or_b32 v11, v6, s10, v7
.LBB6_1764:
	s_or_b64 exec, exec, s[12:13]
.LBB6_1765:
	s_or_b64 exec, exec, s[2:3]
	s_mov_b64 s[2:3], 0
	global_store_byte v[8:9], v11, off
.LBB6_1766:
	s_and_b64 vcc, exec, s[2:3]
	s_cbranch_vccz .LBB6_1776
; %bb.1767:
	v_cvt_f32_f64_e32 v6, v[4:5]
	s_mov_b32 s2, 0x43f00000
                                        ; implicit-def: $vgpr7
	v_and_b32_e32 v11, 0x7fffffff, v6
	v_cmp_gt_u32_e32 vcc, s2, v11
	s_and_saveexec_b64 s[2:3], vcc
	s_xor_b64 s[2:3], exec, s[2:3]
	s_cbranch_execz .LBB6_1773
; %bb.1768:
	s_mov_b32 s10, 0x3c7fffff
	v_cmp_lt_u32_e32 vcc, s10, v11
                                        ; implicit-def: $vgpr7
	s_and_saveexec_b64 s[10:11], vcc
	s_xor_b64 s[10:11], exec, s[10:11]
; %bb.1769:
	v_bfe_u32 v7, v6, 20, 1
	s_mov_b32 s12, 0x407ffff
	v_add3_u32 v7, v6, v7, s12
	v_lshrrev_b32_e32 v11, 20, v7
	v_and_b32_e32 v7, 0xff00000, v7
	s_mov_b32 s12, 0x7f00000
	v_mov_b32_e32 v12, 0x7e
	v_cmp_ne_u32_e32 vcc, s12, v7
	v_cndmask_b32_e32 v7, v12, v11, vcc
; %bb.1770:
	s_andn2_saveexec_b64 s[10:11], s[10:11]
; %bb.1771:
	s_mov_b32 s12, 0x46800000
	v_add_f32_e64 v7, |v6|, s12
; %bb.1772:
	s_or_b64 exec, exec, s[10:11]
                                        ; implicit-def: $vgpr11
.LBB6_1773:
	s_andn2_saveexec_b64 s[2:3], s[2:3]
; %bb.1774:
	s_mov_b32 s10, 0x7f800000
	v_mov_b32_e32 v7, 0x7e
	v_mov_b32_e32 v12, 0x7f
	v_cmp_lt_u32_e32 vcc, s10, v11
	v_cndmask_b32_e32 v7, v7, v12, vcc
; %bb.1775:
	s_or_b64 exec, exec, s[2:3]
	v_lshrrev_b32_e32 v6, 24, v6
	s_movk_i32 s2, 0x80
	v_and_or_b32 v6, v6, s2, v7
	global_store_byte v[8:9], v6, off
.LBB6_1776:
	s_mov_b64 s[2:3], 0
.LBB6_1777:
	s_andn2_b64 vcc, exec, s[2:3]
	s_cbranch_vccnz .LBB6_1787
; %bb.1778:
	v_cvt_f32_f64_e32 v6, v[4:5]
	s_mov_b32 s2, 0x47800000
                                        ; implicit-def: $vgpr7
	v_and_b32_e32 v11, 0x7fffffff, v6
	v_cmp_gt_u32_e32 vcc, s2, v11
	s_and_saveexec_b64 s[2:3], vcc
	s_xor_b64 s[2:3], exec, s[2:3]
	s_cbranch_execz .LBB6_1784
; %bb.1779:
	s_mov_b32 s10, 0x387fffff
	v_cmp_lt_u32_e32 vcc, s10, v11
                                        ; implicit-def: $vgpr7
	s_and_saveexec_b64 s[10:11], vcc
	s_xor_b64 s[10:11], exec, s[10:11]
; %bb.1780:
	v_bfe_u32 v7, v6, 21, 1
	s_mov_b32 s12, 0x80fffff
	v_add3_u32 v7, v6, v7, s12
	v_lshrrev_b32_e32 v7, 21, v7
; %bb.1781:
	s_andn2_saveexec_b64 s[10:11], s[10:11]
; %bb.1782:
	s_mov_b32 s12, 0x43000000
	v_add_f32_e64 v7, |v6|, s12
; %bb.1783:
	s_or_b64 exec, exec, s[10:11]
                                        ; implicit-def: $vgpr11
.LBB6_1784:
	s_andn2_saveexec_b64 s[2:3], s[2:3]
; %bb.1785:
	s_mov_b32 s10, 0x7f800000
	v_mov_b32_e32 v7, 0x7c
	v_mov_b32_e32 v12, 0x7f
	v_cmp_lt_u32_e32 vcc, s10, v11
	v_cndmask_b32_e32 v7, v7, v12, vcc
; %bb.1786:
	s_or_b64 exec, exec, s[2:3]
	v_lshrrev_b32_e32 v6, 24, v6
	s_movk_i32 s2, 0x80
	v_and_or_b32 v6, v6, s2, v7
	global_store_byte v[8:9], v6, off
.LBB6_1787:
	s_mov_b64 s[2:3], 0
	s_mov_b64 s[10:11], -1
.LBB6_1788:
	s_andn2_b64 vcc, exec, s[2:3]
	s_mov_b64 s[2:3], 0
	s_cbranch_vccnz .LBB6_1795
; %bb.1789:
	s_cmp_gt_i32 s19, 14
	s_mov_b64 s[12:13], -1
	s_cbranch_scc0 .LBB6_1793
; %bb.1790:
	s_cmp_eq_u32 s19, 15
	s_mov_b64 s[0:1], -1
	s_cbranch_scc0 .LBB6_1792
; %bb.1791:
	v_cvt_f32_f64_e32 v6, v[4:5]
	s_movk_i32 s0, 0x7fff
	v_mov_b32_e32 v7, 0x7fc0
	s_mov_b64 s[10:11], -1
	v_bfe_u32 v11, v6, 16, 1
	v_cmp_o_f32_e32 vcc, v6, v6
	v_add3_u32 v6, v6, v11, s0
	v_cndmask_b32_sdwa v6, v7, v6, vcc dst_sel:DWORD dst_unused:UNUSED_PAD src0_sel:DWORD src1_sel:WORD_1
	global_store_short v[8:9], v6, off
	s_mov_b64 s[0:1], 0
.LBB6_1792:
	s_mov_b64 s[12:13], 0
.LBB6_1793:
	s_and_b64 vcc, exec, s[12:13]
	s_cbranch_vccz .LBB6_1795
; %bb.1794:
	s_cmp_lg_u32 s19, 11
	s_mov_b64 s[2:3], -1
	s_cselect_b64 s[0:1], -1, 0
.LBB6_1795:
	s_and_b64 vcc, exec, s[0:1]
	s_cbranch_vccnz .LBB6_2045
; %bb.1796:
	s_andn2_b64 vcc, exec, s[2:3]
	s_cbranch_vccnz .LBB6_1798
.LBB6_1797:
	v_cmp_neq_f64_e32 vcc, 0, v[4:5]
	s_mov_b64 s[10:11], -1
	v_cndmask_b32_e64 v6, 0, 1, vcc
	global_store_byte v[8:9], v6, off
.LBB6_1798:
	s_mov_b64 s[0:1], 0
	s_branch .LBB6_1800
.LBB6_1799:
	s_mov_b64 s[0:1], -1
	s_mov_b64 s[10:11], 0
.LBB6_1800:
	s_and_b64 vcc, exec, s[0:1]
	s_cbranch_vccz .LBB6_1839
; %bb.1801:
	s_and_b32 s2, 0xffff, s20
	s_cmp_lt_i32 s2, 5
	s_mov_b64 s[0:1], -1
	s_cbranch_scc1 .LBB6_1822
; %bb.1802:
	s_cmp_lt_i32 s2, 8
	s_cbranch_scc1 .LBB6_1812
; %bb.1803:
	s_cmp_lt_i32 s2, 9
	s_cbranch_scc1 .LBB6_1809
; %bb.1804:
	s_cmp_gt_i32 s2, 9
	s_cbranch_scc0 .LBB6_1806
; %bb.1805:
	v_mov_b32_e32 v6, 0
	v_mov_b32_e32 v7, v6
	global_store_dwordx4 v[8:9], v[4:7], off
	s_mov_b64 s[0:1], 0
.LBB6_1806:
	s_andn2_b64 vcc, exec, s[0:1]
	s_cbranch_vccnz .LBB6_1808
; %bb.1807:
	v_cvt_f32_f64_e32 v6, v[4:5]
	v_mov_b32_e32 v7, 0
	global_store_dwordx2 v[8:9], v[6:7], off
.LBB6_1808:
	s_mov_b64 s[0:1], 0
.LBB6_1809:
	s_andn2_b64 vcc, exec, s[0:1]
	s_cbranch_vccnz .LBB6_1811
; %bb.1810:
	s_movk_i32 s0, 0x1ff
	v_and_or_b32 v6, v5, s0, v4
	v_cmp_ne_u32_e32 vcc, 0, v6
	v_cndmask_b32_e64 v6, 0, 1, vcc
	v_lshrrev_b32_e32 v7, 8, v5
	s_movk_i32 s0, 0xffe
	v_bfe_u32 v11, v5, 20, 11
	v_and_or_b32 v6, v7, s0, v6
	v_sub_u32_e32 v12, 0x3f1, v11
	v_or_b32_e32 v7, 0x1000, v6
	v_med3_i32 v12, v12, 0, 13
	v_lshrrev_b32_e32 v13, v12, v7
	v_lshlrev_b32_e32 v12, v12, v13
	v_cmp_ne_u32_e32 vcc, v12, v7
	v_cndmask_b32_e64 v7, 0, 1, vcc
	v_add_u32_e32 v11, 0xfffffc10, v11
	v_or_b32_e32 v7, v13, v7
	v_lshl_or_b32 v12, v11, 12, v6
	v_cmp_gt_i32_e32 vcc, 1, v11
	v_cndmask_b32_e32 v7, v12, v7, vcc
	v_and_b32_e32 v12, 7, v7
	v_cmp_lt_i32_e32 vcc, 5, v12
	v_cndmask_b32_e64 v13, 0, 1, vcc
	v_cmp_eq_u32_e32 vcc, 3, v12
	v_cndmask_b32_e64 v12, 0, 1, vcc
	v_or_b32_e32 v12, v12, v13
	v_lshrrev_b32_e32 v7, 2, v7
	v_add_u32_e32 v7, v7, v12
	v_mov_b32_e32 v12, 0x7c00
	v_cmp_gt_i32_e32 vcc, 31, v11
	v_cndmask_b32_e32 v7, v12, v7, vcc
	v_mov_b32_e32 v13, 0x7e00
	v_cmp_ne_u32_e32 vcc, 0, v6
	s_movk_i32 s0, 0x40f
	v_cndmask_b32_e32 v6, v12, v13, vcc
	v_cmp_eq_u32_e32 vcc, s0, v11
	v_cndmask_b32_e32 v6, v7, v6, vcc
	v_lshrrev_b32_e32 v7, 16, v5
	s_mov_b32 s0, 0x8000
	v_and_or_b32 v6, v7, s0, v6
	v_and_b32_e32 v6, 0xffff, v6
	global_store_dword v[8:9], v6, off
.LBB6_1811:
	s_mov_b64 s[0:1], 0
.LBB6_1812:
	s_andn2_b64 vcc, exec, s[0:1]
	s_cbranch_vccnz .LBB6_1821
; %bb.1813:
	s_cmp_lt_i32 s2, 6
	s_mov_b64 s[0:1], -1
	s_cbranch_scc1 .LBB6_1819
; %bb.1814:
	s_cmp_gt_i32 s2, 6
	s_cbranch_scc0 .LBB6_1816
; %bb.1815:
	global_store_dwordx2 v[8:9], v[4:5], off
	s_mov_b64 s[0:1], 0
.LBB6_1816:
	s_andn2_b64 vcc, exec, s[0:1]
	s_cbranch_vccnz .LBB6_1818
; %bb.1817:
	v_cvt_f32_f64_e32 v6, v[4:5]
	global_store_dword v[8:9], v6, off
.LBB6_1818:
	s_mov_b64 s[0:1], 0
.LBB6_1819:
	s_andn2_b64 vcc, exec, s[0:1]
	s_cbranch_vccnz .LBB6_1821
; %bb.1820:
	s_movk_i32 s0, 0x1ff
	v_and_or_b32 v6, v5, s0, v4
	v_cmp_ne_u32_e32 vcc, 0, v6
	v_cndmask_b32_e64 v6, 0, 1, vcc
	v_lshrrev_b32_e32 v7, 8, v5
	s_movk_i32 s0, 0xffe
	v_bfe_u32 v11, v5, 20, 11
	v_and_or_b32 v6, v7, s0, v6
	v_sub_u32_e32 v12, 0x3f1, v11
	v_or_b32_e32 v7, 0x1000, v6
	v_med3_i32 v12, v12, 0, 13
	v_lshrrev_b32_e32 v13, v12, v7
	v_lshlrev_b32_e32 v12, v12, v13
	v_cmp_ne_u32_e32 vcc, v12, v7
	v_cndmask_b32_e64 v7, 0, 1, vcc
	v_add_u32_e32 v11, 0xfffffc10, v11
	v_or_b32_e32 v7, v13, v7
	v_lshl_or_b32 v12, v11, 12, v6
	v_cmp_gt_i32_e32 vcc, 1, v11
	v_cndmask_b32_e32 v7, v12, v7, vcc
	v_and_b32_e32 v12, 7, v7
	v_cmp_lt_i32_e32 vcc, 5, v12
	v_cndmask_b32_e64 v13, 0, 1, vcc
	v_cmp_eq_u32_e32 vcc, 3, v12
	v_cndmask_b32_e64 v12, 0, 1, vcc
	v_or_b32_e32 v12, v12, v13
	v_lshrrev_b32_e32 v7, 2, v7
	v_add_u32_e32 v7, v7, v12
	v_mov_b32_e32 v12, 0x7c00
	v_cmp_gt_i32_e32 vcc, 31, v11
	v_cndmask_b32_e32 v7, v12, v7, vcc
	v_mov_b32_e32 v13, 0x7e00
	v_cmp_ne_u32_e32 vcc, 0, v6
	s_movk_i32 s0, 0x40f
	v_cndmask_b32_e32 v6, v12, v13, vcc
	v_cmp_eq_u32_e32 vcc, s0, v11
	v_cndmask_b32_e32 v6, v7, v6, vcc
	v_lshrrev_b32_e32 v7, 16, v5
	s_mov_b32 s0, 0x8000
	v_and_or_b32 v6, v7, s0, v6
	global_store_short v[8:9], v6, off
.LBB6_1821:
	s_mov_b64 s[0:1], 0
.LBB6_1822:
	s_andn2_b64 vcc, exec, s[0:1]
	s_cbranch_vccnz .LBB6_1838
; %bb.1823:
	s_cmp_lt_i32 s2, 2
	s_mov_b64 s[0:1], -1
	s_cbranch_scc1 .LBB6_1833
; %bb.1824:
	s_cmp_lt_i32 s2, 3
	s_cbranch_scc1 .LBB6_1830
; %bb.1825:
	s_cmp_gt_i32 s2, 3
	s_cbranch_scc0 .LBB6_1827
; %bb.1826:
	v_trunc_f64_e32 v[6:7], v[4:5]
	s_movk_i32 s0, 0xffe0
	v_ldexp_f64 v[11:12], v[6:7], s0
	s_mov_b32 s0, 0
	s_mov_b32 s1, 0xc1f00000
	v_floor_f64_e32 v[11:12], v[11:12]
	v_fma_f64 v[6:7], v[11:12], s[0:1], v[6:7]
	v_cvt_i32_f64_e32 v12, v[11:12]
	s_mov_b64 s[0:1], 0
	v_cvt_u32_f64_e32 v11, v[6:7]
	global_store_dwordx2 v[8:9], v[11:12], off
.LBB6_1827:
	s_andn2_b64 vcc, exec, s[0:1]
	s_cbranch_vccnz .LBB6_1829
; %bb.1828:
	v_cvt_i32_f64_e32 v6, v[4:5]
	global_store_dword v[8:9], v6, off
.LBB6_1829:
	s_mov_b64 s[0:1], 0
.LBB6_1830:
	s_andn2_b64 vcc, exec, s[0:1]
	s_cbranch_vccnz .LBB6_1832
; %bb.1831:
	v_cvt_i32_f64_e32 v6, v[4:5]
	global_store_short v[8:9], v6, off
.LBB6_1832:
	s_mov_b64 s[0:1], 0
.LBB6_1833:
	s_andn2_b64 vcc, exec, s[0:1]
	s_cbranch_vccnz .LBB6_1838
; %bb.1834:
	s_cmp_gt_i32 s2, 0
	s_mov_b64 s[0:1], -1
	s_cbranch_scc0 .LBB6_1836
; %bb.1835:
	v_cvt_i32_f64_e32 v6, v[4:5]
	s_mov_b64 s[0:1], 0
	global_store_byte v[8:9], v6, off
.LBB6_1836:
	s_andn2_b64 vcc, exec, s[0:1]
	s_cbranch_vccnz .LBB6_1838
; %bb.1837:
	v_trunc_f64_e32 v[4:5], v[4:5]
	s_movk_i32 s0, 0xffe0
	v_ldexp_f64 v[6:7], v[4:5], s0
	s_mov_b32 s0, 0
	s_mov_b32 s1, 0xc1f00000
	v_floor_f64_e32 v[6:7], v[6:7]
	v_fma_f64 v[4:5], v[6:7], s[0:1], v[4:5]
	v_cvt_u32_f64_e32 v4, v[4:5]
	global_store_byte v[8:9], v4, off
.LBB6_1838:
	s_mov_b64 s[10:11], -1
.LBB6_1839:
	s_andn2_b64 vcc, exec, s[10:11]
	s_cbranch_vccnz .LBB6_2035
; %bb.1840:
	v_add_u32_e32 v8, s18, v10
	v_ashrrev_i32_e32 v4, 31, v8
	v_mov_b32_e32 v5, s9
	v_add_co_u32_e32 v6, vcc, s8, v8
	s_cmp_lt_i32 s20, 11
	v_addc_co_u32_e32 v7, vcc, v5, v4, vcc
	s_cbranch_scc1 .LBB6_1918
; %bb.1841:
	s_and_b32 s19, 0xffff, s20
	s_mov_b64 s[12:13], -1
	s_mov_b64 s[2:3], 0
	s_cmp_gt_i32 s19, 25
	s_mov_b64 s[10:11], 0
	s_mov_b64 s[0:1], 0
	s_cbranch_scc0 .LBB6_1874
; %bb.1842:
	s_cmp_gt_i32 s19, 28
	s_cbranch_scc0 .LBB6_1857
; %bb.1843:
	s_cmp_gt_i32 s19, 43
	;; [unrolled: 3-line block ×3, first 2 shown]
	s_cbranch_scc0 .LBB6_1847
; %bb.1845:
	s_mov_b64 s[0:1], -1
	s_mov_b64 s[12:13], 0
	s_cmp_eq_u32 s19, 46
	s_cbranch_scc0 .LBB6_1847
; %bb.1846:
	v_cvt_f32_f64_e32 v4, v[2:3]
	s_movk_i32 s0, 0x7fff
	v_mov_b32_e32 v5, 0x7fc0
	s_mov_b64 s[10:11], -1
	v_bfe_u32 v9, v4, 16, 1
	v_cmp_o_f32_e32 vcc, v4, v4
	v_add3_u32 v4, v4, v9, s0
	v_cndmask_b32_sdwa v4, v5, v4, vcc dst_sel:DWORD dst_unused:UNUSED_PAD src0_sel:DWORD src1_sel:WORD_1
	global_store_dword v[6:7], v4, off
	s_mov_b64 s[0:1], 0
.LBB6_1847:
	s_and_b64 vcc, exec, s[12:13]
	s_cbranch_vccz .LBB6_1852
; %bb.1848:
	s_cmp_eq_u32 s19, 44
	s_mov_b64 s[0:1], -1
	s_cbranch_scc0 .LBB6_1852
; %bb.1849:
	v_cvt_f32_f64_e32 v4, v[2:3]
	s_movk_i32 s0, 0xff
	v_mov_b32_e32 v9, 0xff
	v_bfe_u32 v5, v4, 23, 8
	v_cmp_ne_u32_e32 vcc, s0, v5
	s_and_saveexec_b64 s[10:11], vcc
; %bb.1850:
	s_mov_b32 s0, 0x3fffff
	v_lshrrev_b32_e32 v9, 23, v4
	v_and_b32_e32 v10, 0x400000, v4
	v_and_or_b32 v4, v4, s0, v5
	v_cmp_ne_u32_e32 vcc, 0, v10
	v_cmp_ne_u32_e64 s[0:1], 0, v4
	s_and_b64 s[0:1], vcc, s[0:1]
	v_cndmask_b32_e64 v4, 0, 1, s[0:1]
	v_add_u32_e32 v9, v9, v4
; %bb.1851:
	s_or_b64 exec, exec, s[10:11]
	s_mov_b64 s[0:1], 0
	s_mov_b64 s[10:11], -1
	global_store_byte v[6:7], v9, off
.LBB6_1852:
	s_mov_b64 s[12:13], 0
.LBB6_1853:
	s_and_b64 vcc, exec, s[12:13]
	s_cbranch_vccz .LBB6_1856
; %bb.1854:
	s_cmp_eq_u32 s19, 29
	s_mov_b64 s[0:1], -1
	s_cbranch_scc0 .LBB6_1856
; %bb.1855:
	v_trunc_f64_e32 v[4:5], v[2:3]
	s_movk_i32 s0, 0xffe0
	s_mov_b64 s[10:11], -1
	v_ldexp_f64 v[9:10], v[4:5], s0
	s_mov_b32 s0, 0
	s_mov_b32 s1, 0xc1f00000
	v_floor_f64_e32 v[9:10], v[9:10]
	v_fma_f64 v[4:5], v[9:10], s[0:1], v[4:5]
	v_cvt_u32_f64_e32 v10, v[9:10]
	s_mov_b64 s[0:1], 0
	v_cvt_u32_f64_e32 v9, v[4:5]
	global_store_dwordx2 v[6:7], v[9:10], off
.LBB6_1856:
	s_mov_b64 s[12:13], 0
.LBB6_1857:
	s_and_b64 vcc, exec, s[12:13]
	s_cbranch_vccz .LBB6_1873
; %bb.1858:
	s_cmp_lt_i32 s19, 27
	s_mov_b64 s[10:11], -1
	s_cbranch_scc1 .LBB6_1864
; %bb.1859:
	v_cvt_u32_f64_e32 v4, v[2:3]
	s_cmp_gt_i32 s19, 27
	s_cbranch_scc0 .LBB6_1861
; %bb.1860:
	s_mov_b64 s[10:11], 0
	global_store_dword v[6:7], v4, off
.LBB6_1861:
	s_andn2_b64 vcc, exec, s[10:11]
	s_cbranch_vccnz .LBB6_1863
; %bb.1862:
	global_store_short v[6:7], v4, off
.LBB6_1863:
	s_mov_b64 s[10:11], 0
.LBB6_1864:
	s_andn2_b64 vcc, exec, s[10:11]
	s_cbranch_vccnz .LBB6_1872
; %bb.1865:
	v_cvt_f32_f64_e32 v4, v[2:3]
	s_mov_b32 s10, 0x43800000
	v_mov_b32_e32 v9, 0x80
	v_and_b32_e32 v5, 0x7fffffff, v4
	v_cmp_gt_u32_e32 vcc, s10, v5
	s_and_saveexec_b64 s[10:11], vcc
	s_cbranch_execz .LBB6_1871
; %bb.1866:
	s_mov_b32 s12, 0x3bffffff
	v_cmp_lt_u32_e32 vcc, s12, v5
	s_mov_b64 s[12:13], 0
                                        ; implicit-def: $vgpr5
	s_and_saveexec_b64 s[14:15], vcc
	s_xor_b64 s[14:15], exec, s[14:15]
	s_cbranch_execz .LBB6_2048
; %bb.1867:
	v_bfe_u32 v5, v4, 20, 1
	s_mov_b32 s21, 0x487ffff
	v_add3_u32 v5, v4, v5, s21
	s_mov_b64 s[12:13], exec
	v_lshrrev_b32_e32 v5, 20, v5
	s_andn2_saveexec_b64 s[14:15], s[14:15]
	s_cbranch_execnz .LBB6_2049
.LBB6_1868:
	s_or_b64 exec, exec, s[14:15]
	v_mov_b32_e32 v9, 0
	s_and_saveexec_b64 s[14:15], s[12:13]
.LBB6_1869:
	v_lshrrev_b32_e32 v4, 24, v4
	s_movk_i32 s12, 0x80
	v_and_or_b32 v9, v4, s12, v5
.LBB6_1870:
	s_or_b64 exec, exec, s[14:15]
.LBB6_1871:
	s_or_b64 exec, exec, s[10:11]
	global_store_byte v[6:7], v9, off
.LBB6_1872:
	s_mov_b64 s[10:11], -1
.LBB6_1873:
	s_mov_b64 s[12:13], 0
.LBB6_1874:
	s_and_b64 vcc, exec, s[12:13]
	s_cbranch_vccz .LBB6_1914
; %bb.1875:
	s_cmp_gt_i32 s19, 22
	s_mov_b64 s[2:3], -1
	s_cbranch_scc0 .LBB6_1907
; %bb.1876:
	s_cmp_lt_i32 s19, 24
	s_cbranch_scc1 .LBB6_1896
; %bb.1877:
	s_cmp_gt_i32 s19, 24
	s_cbranch_scc0 .LBB6_1885
; %bb.1878:
	v_cvt_f32_f64_e32 v4, v[2:3]
	s_mov_b32 s2, 0x47800000
	v_mov_b32_e32 v9, 0x80
	v_and_b32_e32 v5, 0x7fffffff, v4
	v_cmp_gt_u32_e32 vcc, s2, v5
	s_and_saveexec_b64 s[2:3], vcc
	s_cbranch_execz .LBB6_1884
; %bb.1879:
	s_mov_b32 s10, 0x37ffffff
	v_cmp_lt_u32_e32 vcc, s10, v5
	s_mov_b64 s[10:11], 0
                                        ; implicit-def: $vgpr5
	s_and_saveexec_b64 s[12:13], vcc
	s_xor_b64 s[12:13], exec, s[12:13]
	s_cbranch_execz .LBB6_2051
; %bb.1880:
	v_bfe_u32 v5, v4, 21, 1
	s_mov_b32 s14, 0x88fffff
	v_add3_u32 v5, v4, v5, s14
	s_mov_b64 s[10:11], exec
	v_lshrrev_b32_e32 v5, 21, v5
	s_andn2_saveexec_b64 s[12:13], s[12:13]
	s_cbranch_execnz .LBB6_2052
.LBB6_1881:
	s_or_b64 exec, exec, s[12:13]
	v_mov_b32_e32 v9, 0
	s_and_saveexec_b64 s[12:13], s[10:11]
.LBB6_1882:
	v_lshrrev_b32_e32 v4, 24, v4
	s_movk_i32 s10, 0x80
	v_and_or_b32 v9, v4, s10, v5
.LBB6_1883:
	s_or_b64 exec, exec, s[12:13]
.LBB6_1884:
	s_or_b64 exec, exec, s[2:3]
	s_mov_b64 s[2:3], 0
	global_store_byte v[6:7], v9, off
.LBB6_1885:
	s_and_b64 vcc, exec, s[2:3]
	s_cbranch_vccz .LBB6_1895
; %bb.1886:
	v_cvt_f32_f64_e32 v4, v[2:3]
	s_mov_b32 s2, 0x43f00000
                                        ; implicit-def: $vgpr5
	v_and_b32_e32 v9, 0x7fffffff, v4
	v_cmp_gt_u32_e32 vcc, s2, v9
	s_and_saveexec_b64 s[2:3], vcc
	s_xor_b64 s[2:3], exec, s[2:3]
	s_cbranch_execz .LBB6_1892
; %bb.1887:
	s_mov_b32 s10, 0x3c7fffff
	v_cmp_lt_u32_e32 vcc, s10, v9
                                        ; implicit-def: $vgpr5
	s_and_saveexec_b64 s[10:11], vcc
	s_xor_b64 s[10:11], exec, s[10:11]
; %bb.1888:
	v_bfe_u32 v5, v4, 20, 1
	s_mov_b32 s12, 0x407ffff
	v_add3_u32 v5, v4, v5, s12
	v_lshrrev_b32_e32 v9, 20, v5
	v_and_b32_e32 v5, 0xff00000, v5
	s_mov_b32 s12, 0x7f00000
	v_mov_b32_e32 v10, 0x7e
	v_cmp_ne_u32_e32 vcc, s12, v5
	v_cndmask_b32_e32 v5, v10, v9, vcc
; %bb.1889:
	s_andn2_saveexec_b64 s[10:11], s[10:11]
; %bb.1890:
	s_mov_b32 s12, 0x46800000
	v_add_f32_e64 v5, |v4|, s12
; %bb.1891:
	s_or_b64 exec, exec, s[10:11]
                                        ; implicit-def: $vgpr9
.LBB6_1892:
	s_andn2_saveexec_b64 s[2:3], s[2:3]
; %bb.1893:
	s_mov_b32 s10, 0x7f800000
	v_mov_b32_e32 v5, 0x7e
	v_mov_b32_e32 v10, 0x7f
	v_cmp_lt_u32_e32 vcc, s10, v9
	v_cndmask_b32_e32 v5, v5, v10, vcc
; %bb.1894:
	s_or_b64 exec, exec, s[2:3]
	v_lshrrev_b32_e32 v4, 24, v4
	s_movk_i32 s2, 0x80
	v_and_or_b32 v4, v4, s2, v5
	global_store_byte v[6:7], v4, off
.LBB6_1895:
	s_mov_b64 s[2:3], 0
.LBB6_1896:
	s_andn2_b64 vcc, exec, s[2:3]
	s_cbranch_vccnz .LBB6_1906
; %bb.1897:
	v_cvt_f32_f64_e32 v4, v[2:3]
	s_mov_b32 s2, 0x47800000
                                        ; implicit-def: $vgpr5
	v_and_b32_e32 v9, 0x7fffffff, v4
	v_cmp_gt_u32_e32 vcc, s2, v9
	s_and_saveexec_b64 s[2:3], vcc
	s_xor_b64 s[2:3], exec, s[2:3]
	s_cbranch_execz .LBB6_1903
; %bb.1898:
	s_mov_b32 s10, 0x387fffff
	v_cmp_lt_u32_e32 vcc, s10, v9
                                        ; implicit-def: $vgpr5
	s_and_saveexec_b64 s[10:11], vcc
	s_xor_b64 s[10:11], exec, s[10:11]
; %bb.1899:
	v_bfe_u32 v5, v4, 21, 1
	s_mov_b32 s12, 0x80fffff
	v_add3_u32 v5, v4, v5, s12
	v_lshrrev_b32_e32 v5, 21, v5
; %bb.1900:
	s_andn2_saveexec_b64 s[10:11], s[10:11]
; %bb.1901:
	s_mov_b32 s12, 0x43000000
	v_add_f32_e64 v5, |v4|, s12
; %bb.1902:
	s_or_b64 exec, exec, s[10:11]
                                        ; implicit-def: $vgpr9
.LBB6_1903:
	s_andn2_saveexec_b64 s[2:3], s[2:3]
; %bb.1904:
	s_mov_b32 s10, 0x7f800000
	v_mov_b32_e32 v5, 0x7c
	v_mov_b32_e32 v10, 0x7f
	v_cmp_lt_u32_e32 vcc, s10, v9
	v_cndmask_b32_e32 v5, v5, v10, vcc
; %bb.1905:
	s_or_b64 exec, exec, s[2:3]
	v_lshrrev_b32_e32 v4, 24, v4
	s_movk_i32 s2, 0x80
	v_and_or_b32 v4, v4, s2, v5
	global_store_byte v[6:7], v4, off
.LBB6_1906:
	s_mov_b64 s[2:3], 0
	s_mov_b64 s[10:11], -1
.LBB6_1907:
	s_andn2_b64 vcc, exec, s[2:3]
	s_mov_b64 s[2:3], 0
	s_cbranch_vccnz .LBB6_1914
; %bb.1908:
	s_cmp_gt_i32 s19, 14
	s_mov_b64 s[12:13], -1
	s_cbranch_scc0 .LBB6_1912
; %bb.1909:
	s_cmp_eq_u32 s19, 15
	s_mov_b64 s[0:1], -1
	s_cbranch_scc0 .LBB6_1911
; %bb.1910:
	v_cvt_f32_f64_e32 v4, v[2:3]
	s_movk_i32 s0, 0x7fff
	v_mov_b32_e32 v5, 0x7fc0
	s_mov_b64 s[10:11], -1
	v_bfe_u32 v9, v4, 16, 1
	v_cmp_o_f32_e32 vcc, v4, v4
	v_add3_u32 v4, v4, v9, s0
	v_cndmask_b32_sdwa v4, v5, v4, vcc dst_sel:DWORD dst_unused:UNUSED_PAD src0_sel:DWORD src1_sel:WORD_1
	global_store_short v[6:7], v4, off
	s_mov_b64 s[0:1], 0
.LBB6_1911:
	s_mov_b64 s[12:13], 0
.LBB6_1912:
	s_and_b64 vcc, exec, s[12:13]
	s_cbranch_vccz .LBB6_1914
; %bb.1913:
	s_cmp_lg_u32 s19, 11
	s_mov_b64 s[2:3], -1
	s_cselect_b64 s[0:1], -1, 0
.LBB6_1914:
	s_and_b64 vcc, exec, s[0:1]
	s_cbranch_vccnz .LBB6_2050
; %bb.1915:
	s_andn2_b64 vcc, exec, s[2:3]
	s_cbranch_vccnz .LBB6_1917
.LBB6_1916:
	v_cmp_neq_f64_e32 vcc, 0, v[2:3]
	s_mov_b64 s[10:11], -1
	v_cndmask_b32_e64 v4, 0, 1, vcc
	global_store_byte v[6:7], v4, off
.LBB6_1917:
	s_mov_b64 s[0:1], 0
	s_branch .LBB6_1919
.LBB6_1918:
	s_mov_b64 s[0:1], -1
	s_mov_b64 s[10:11], 0
.LBB6_1919:
	s_and_b64 vcc, exec, s[0:1]
	s_cbranch_vccz .LBB6_1958
; %bb.1920:
	s_and_b32 s2, 0xffff, s20
	s_cmp_lt_i32 s2, 5
	s_mov_b64 s[0:1], -1
	s_cbranch_scc1 .LBB6_1941
; %bb.1921:
	s_cmp_lt_i32 s2, 8
	s_cbranch_scc1 .LBB6_1931
; %bb.1922:
	s_cmp_lt_i32 s2, 9
	s_cbranch_scc1 .LBB6_1928
; %bb.1923:
	s_cmp_gt_i32 s2, 9
	s_cbranch_scc0 .LBB6_1925
; %bb.1924:
	v_mov_b32_e32 v4, 0
	v_mov_b32_e32 v5, v4
	global_store_dwordx4 v[6:7], v[2:5], off
	s_mov_b64 s[0:1], 0
.LBB6_1925:
	s_andn2_b64 vcc, exec, s[0:1]
	s_cbranch_vccnz .LBB6_1927
; %bb.1926:
	v_cvt_f32_f64_e32 v4, v[2:3]
	v_mov_b32_e32 v5, 0
	global_store_dwordx2 v[6:7], v[4:5], off
.LBB6_1927:
	s_mov_b64 s[0:1], 0
.LBB6_1928:
	s_andn2_b64 vcc, exec, s[0:1]
	s_cbranch_vccnz .LBB6_1930
; %bb.1929:
	s_movk_i32 s0, 0x1ff
	v_and_or_b32 v4, v3, s0, v2
	v_cmp_ne_u32_e32 vcc, 0, v4
	v_cndmask_b32_e64 v4, 0, 1, vcc
	v_lshrrev_b32_e32 v5, 8, v3
	s_movk_i32 s0, 0xffe
	v_bfe_u32 v9, v3, 20, 11
	v_and_or_b32 v4, v5, s0, v4
	v_sub_u32_e32 v10, 0x3f1, v9
	v_or_b32_e32 v5, 0x1000, v4
	v_med3_i32 v10, v10, 0, 13
	v_lshrrev_b32_e32 v11, v10, v5
	v_lshlrev_b32_e32 v10, v10, v11
	v_cmp_ne_u32_e32 vcc, v10, v5
	v_cndmask_b32_e64 v5, 0, 1, vcc
	v_add_u32_e32 v9, 0xfffffc10, v9
	v_or_b32_e32 v5, v11, v5
	v_lshl_or_b32 v10, v9, 12, v4
	v_cmp_gt_i32_e32 vcc, 1, v9
	v_cndmask_b32_e32 v5, v10, v5, vcc
	v_and_b32_e32 v10, 7, v5
	v_cmp_lt_i32_e32 vcc, 5, v10
	v_cndmask_b32_e64 v11, 0, 1, vcc
	v_cmp_eq_u32_e32 vcc, 3, v10
	v_cndmask_b32_e64 v10, 0, 1, vcc
	v_or_b32_e32 v10, v10, v11
	v_lshrrev_b32_e32 v5, 2, v5
	v_add_u32_e32 v5, v5, v10
	v_mov_b32_e32 v10, 0x7c00
	v_cmp_gt_i32_e32 vcc, 31, v9
	v_cndmask_b32_e32 v5, v10, v5, vcc
	v_mov_b32_e32 v11, 0x7e00
	v_cmp_ne_u32_e32 vcc, 0, v4
	s_movk_i32 s0, 0x40f
	v_cndmask_b32_e32 v4, v10, v11, vcc
	v_cmp_eq_u32_e32 vcc, s0, v9
	v_cndmask_b32_e32 v4, v5, v4, vcc
	v_lshrrev_b32_e32 v5, 16, v3
	s_mov_b32 s0, 0x8000
	v_and_or_b32 v4, v5, s0, v4
	v_and_b32_e32 v4, 0xffff, v4
	global_store_dword v[6:7], v4, off
.LBB6_1930:
	s_mov_b64 s[0:1], 0
.LBB6_1931:
	s_andn2_b64 vcc, exec, s[0:1]
	s_cbranch_vccnz .LBB6_1940
; %bb.1932:
	s_cmp_lt_i32 s2, 6
	s_mov_b64 s[0:1], -1
	s_cbranch_scc1 .LBB6_1938
; %bb.1933:
	s_cmp_gt_i32 s2, 6
	s_cbranch_scc0 .LBB6_1935
; %bb.1934:
	global_store_dwordx2 v[6:7], v[2:3], off
	s_mov_b64 s[0:1], 0
.LBB6_1935:
	s_andn2_b64 vcc, exec, s[0:1]
	s_cbranch_vccnz .LBB6_1937
; %bb.1936:
	v_cvt_f32_f64_e32 v4, v[2:3]
	global_store_dword v[6:7], v4, off
.LBB6_1937:
	s_mov_b64 s[0:1], 0
.LBB6_1938:
	s_andn2_b64 vcc, exec, s[0:1]
	s_cbranch_vccnz .LBB6_1940
; %bb.1939:
	s_movk_i32 s0, 0x1ff
	v_and_or_b32 v4, v3, s0, v2
	v_cmp_ne_u32_e32 vcc, 0, v4
	v_cndmask_b32_e64 v4, 0, 1, vcc
	v_lshrrev_b32_e32 v5, 8, v3
	s_movk_i32 s0, 0xffe
	v_bfe_u32 v9, v3, 20, 11
	v_and_or_b32 v4, v5, s0, v4
	v_sub_u32_e32 v10, 0x3f1, v9
	v_or_b32_e32 v5, 0x1000, v4
	v_med3_i32 v10, v10, 0, 13
	v_lshrrev_b32_e32 v11, v10, v5
	v_lshlrev_b32_e32 v10, v10, v11
	v_cmp_ne_u32_e32 vcc, v10, v5
	v_cndmask_b32_e64 v5, 0, 1, vcc
	v_add_u32_e32 v9, 0xfffffc10, v9
	v_or_b32_e32 v5, v11, v5
	v_lshl_or_b32 v10, v9, 12, v4
	v_cmp_gt_i32_e32 vcc, 1, v9
	v_cndmask_b32_e32 v5, v10, v5, vcc
	v_and_b32_e32 v10, 7, v5
	v_cmp_lt_i32_e32 vcc, 5, v10
	v_cndmask_b32_e64 v11, 0, 1, vcc
	v_cmp_eq_u32_e32 vcc, 3, v10
	v_cndmask_b32_e64 v10, 0, 1, vcc
	v_or_b32_e32 v10, v10, v11
	v_lshrrev_b32_e32 v5, 2, v5
	v_add_u32_e32 v5, v5, v10
	v_mov_b32_e32 v10, 0x7c00
	v_cmp_gt_i32_e32 vcc, 31, v9
	v_cndmask_b32_e32 v5, v10, v5, vcc
	v_mov_b32_e32 v11, 0x7e00
	v_cmp_ne_u32_e32 vcc, 0, v4
	s_movk_i32 s0, 0x40f
	v_cndmask_b32_e32 v4, v10, v11, vcc
	v_cmp_eq_u32_e32 vcc, s0, v9
	v_cndmask_b32_e32 v4, v5, v4, vcc
	v_lshrrev_b32_e32 v5, 16, v3
	s_mov_b32 s0, 0x8000
	v_and_or_b32 v4, v5, s0, v4
	global_store_short v[6:7], v4, off
.LBB6_1940:
	s_mov_b64 s[0:1], 0
.LBB6_1941:
	s_andn2_b64 vcc, exec, s[0:1]
	s_cbranch_vccnz .LBB6_1957
; %bb.1942:
	s_cmp_lt_i32 s2, 2
	s_mov_b64 s[0:1], -1
	s_cbranch_scc1 .LBB6_1952
; %bb.1943:
	s_cmp_lt_i32 s2, 3
	s_cbranch_scc1 .LBB6_1949
; %bb.1944:
	s_cmp_gt_i32 s2, 3
	s_cbranch_scc0 .LBB6_1946
; %bb.1945:
	v_trunc_f64_e32 v[4:5], v[2:3]
	s_movk_i32 s0, 0xffe0
	v_ldexp_f64 v[9:10], v[4:5], s0
	s_mov_b32 s0, 0
	s_mov_b32 s1, 0xc1f00000
	v_floor_f64_e32 v[9:10], v[9:10]
	v_fma_f64 v[4:5], v[9:10], s[0:1], v[4:5]
	v_cvt_i32_f64_e32 v10, v[9:10]
	s_mov_b64 s[0:1], 0
	v_cvt_u32_f64_e32 v9, v[4:5]
	global_store_dwordx2 v[6:7], v[9:10], off
.LBB6_1946:
	s_andn2_b64 vcc, exec, s[0:1]
	s_cbranch_vccnz .LBB6_1948
; %bb.1947:
	v_cvt_i32_f64_e32 v4, v[2:3]
	global_store_dword v[6:7], v4, off
.LBB6_1948:
	s_mov_b64 s[0:1], 0
.LBB6_1949:
	s_andn2_b64 vcc, exec, s[0:1]
	s_cbranch_vccnz .LBB6_1951
; %bb.1950:
	v_cvt_i32_f64_e32 v4, v[2:3]
	global_store_short v[6:7], v4, off
.LBB6_1951:
	s_mov_b64 s[0:1], 0
.LBB6_1952:
	s_andn2_b64 vcc, exec, s[0:1]
	s_cbranch_vccnz .LBB6_1957
; %bb.1953:
	s_cmp_gt_i32 s2, 0
	s_mov_b64 s[0:1], -1
	s_cbranch_scc0 .LBB6_1955
; %bb.1954:
	v_cvt_i32_f64_e32 v4, v[2:3]
	s_mov_b64 s[0:1], 0
	global_store_byte v[6:7], v4, off
.LBB6_1955:
	s_andn2_b64 vcc, exec, s[0:1]
	s_cbranch_vccnz .LBB6_1957
; %bb.1956:
	v_trunc_f64_e32 v[2:3], v[2:3]
	s_movk_i32 s0, 0xffe0
	v_ldexp_f64 v[4:5], v[2:3], s0
	s_mov_b32 s0, 0
	s_mov_b32 s1, 0xc1f00000
	v_floor_f64_e32 v[4:5], v[4:5]
	v_fma_f64 v[2:3], v[4:5], s[0:1], v[2:3]
	v_cvt_u32_f64_e32 v2, v[2:3]
	global_store_byte v[6:7], v2, off
.LBB6_1957:
	s_mov_b64 s[10:11], -1
.LBB6_1958:
	s_andn2_b64 vcc, exec, s[10:11]
	s_cbranch_vccnz .LBB6_2035
; %bb.1959:
	v_add_u32_e32 v2, s18, v8
	v_ashrrev_i32_e32 v3, 31, v2
	v_mov_b32_e32 v5, s9
	v_add_co_u32_e32 v4, vcc, s8, v2
	s_cmp_lt_i32 s20, 11
	v_addc_co_u32_e32 v5, vcc, v5, v3, vcc
	s_cbranch_scc1 .LBB6_2036
; %bb.1960:
	s_and_b32 s14, 0xffff, s20
	s_mov_b64 s[8:9], -1
	s_mov_b64 s[2:3], 0
	s_cmp_gt_i32 s14, 25
	s_mov_b64 s[0:1], 0
	s_cbranch_scc0 .LBB6_1993
; %bb.1961:
	s_cmp_gt_i32 s14, 28
	s_cbranch_scc0 .LBB6_1977
; %bb.1962:
	s_cmp_gt_i32 s14, 43
	s_cbranch_scc0 .LBB6_1973
; %bb.1963:
	s_cmp_gt_i32 s14, 45
	s_cbranch_scc0 .LBB6_1967
; %bb.1964:
	s_cmp_eq_u32 s14, 46
	s_mov_b64 s[0:1], -1
	s_cbranch_scc0 .LBB6_1966
; %bb.1965:
	v_cvt_f32_f64_e32 v2, v[0:1]
	s_movk_i32 s0, 0x7fff
	v_mov_b32_e32 v3, 0x7fc0
	v_bfe_u32 v6, v2, 16, 1
	v_cmp_o_f32_e32 vcc, v2, v2
	v_add3_u32 v2, v2, v6, s0
	v_cndmask_b32_sdwa v2, v3, v2, vcc dst_sel:DWORD dst_unused:UNUSED_PAD src0_sel:DWORD src1_sel:WORD_1
	global_store_dword v[4:5], v2, off
	s_mov_b64 s[0:1], 0
.LBB6_1966:
	s_mov_b64 s[8:9], 0
.LBB6_1967:
	s_and_b64 vcc, exec, s[8:9]
	s_cbranch_vccz .LBB6_1972
; %bb.1968:
	s_cmp_eq_u32 s14, 44
	s_mov_b64 s[0:1], -1
	s_cbranch_scc0 .LBB6_1972
; %bb.1969:
	v_cvt_f32_f64_e32 v2, v[0:1]
	s_movk_i32 s0, 0xff
	v_mov_b32_e32 v6, 0xff
	v_bfe_u32 v3, v2, 23, 8
	v_cmp_ne_u32_e32 vcc, s0, v3
	s_and_saveexec_b64 s[8:9], vcc
; %bb.1970:
	s_mov_b32 s0, 0x3fffff
	v_lshrrev_b32_e32 v6, 23, v2
	v_and_b32_e32 v7, 0x400000, v2
	v_and_or_b32 v2, v2, s0, v3
	v_cmp_ne_u32_e32 vcc, 0, v7
	v_cmp_ne_u32_e64 s[0:1], 0, v2
	s_and_b64 s[0:1], vcc, s[0:1]
	v_cndmask_b32_e64 v2, 0, 1, s[0:1]
	v_add_u32_e32 v6, v6, v2
; %bb.1971:
	s_or_b64 exec, exec, s[8:9]
	s_mov_b64 s[0:1], 0
	global_store_byte v[4:5], v6, off
.LBB6_1972:
	s_mov_b64 s[8:9], 0
.LBB6_1973:
	s_and_b64 vcc, exec, s[8:9]
	s_cbranch_vccz .LBB6_1976
; %bb.1974:
	s_cmp_eq_u32 s14, 29
	s_mov_b64 s[0:1], -1
	s_cbranch_scc0 .LBB6_1976
; %bb.1975:
	v_trunc_f64_e32 v[2:3], v[0:1]
	s_movk_i32 s0, 0xffe0
	v_ldexp_f64 v[6:7], v[2:3], s0
	s_mov_b32 s0, 0
	s_mov_b32 s1, 0xc1f00000
	v_floor_f64_e32 v[6:7], v[6:7]
	v_fma_f64 v[2:3], v[6:7], s[0:1], v[2:3]
	v_cvt_u32_f64_e32 v7, v[6:7]
	s_mov_b64 s[0:1], 0
	v_cvt_u32_f64_e32 v6, v[2:3]
	global_store_dwordx2 v[4:5], v[6:7], off
.LBB6_1976:
	s_mov_b64 s[8:9], 0
.LBB6_1977:
	s_and_b64 vcc, exec, s[8:9]
	s_cbranch_vccz .LBB6_1992
; %bb.1978:
	s_cmp_lt_i32 s14, 27
	s_mov_b64 s[8:9], -1
	s_cbranch_scc1 .LBB6_1984
; %bb.1979:
	v_cvt_u32_f64_e32 v2, v[0:1]
	s_cmp_gt_i32 s14, 27
	s_cbranch_scc0 .LBB6_1981
; %bb.1980:
	global_store_dword v[4:5], v2, off
	s_mov_b64 s[8:9], 0
.LBB6_1981:
	s_andn2_b64 vcc, exec, s[8:9]
	s_cbranch_vccnz .LBB6_1983
; %bb.1982:
	global_store_short v[4:5], v2, off
.LBB6_1983:
	s_mov_b64 s[8:9], 0
.LBB6_1984:
	s_andn2_b64 vcc, exec, s[8:9]
	s_cbranch_vccnz .LBB6_1992
; %bb.1985:
	v_cvt_f32_f64_e32 v2, v[0:1]
	s_mov_b32 s8, 0x43800000
	v_mov_b32_e32 v6, 0x80
	v_and_b32_e32 v3, 0x7fffffff, v2
	v_cmp_gt_u32_e32 vcc, s8, v3
	s_and_saveexec_b64 s[8:9], vcc
	s_cbranch_execz .LBB6_1991
; %bb.1986:
	s_mov_b32 s10, 0x3bffffff
	v_cmp_lt_u32_e32 vcc, s10, v3
	s_mov_b64 s[10:11], 0
                                        ; implicit-def: $vgpr3
	s_and_saveexec_b64 s[12:13], vcc
	s_xor_b64 s[12:13], exec, s[12:13]
	s_cbranch_execz .LBB6_2053
; %bb.1987:
	v_bfe_u32 v3, v2, 20, 1
	s_mov_b32 s15, 0x487ffff
	v_add3_u32 v3, v2, v3, s15
	s_mov_b64 s[10:11], exec
	v_lshrrev_b32_e32 v3, 20, v3
	s_andn2_saveexec_b64 s[12:13], s[12:13]
	s_cbranch_execnz .LBB6_2054
.LBB6_1988:
	s_or_b64 exec, exec, s[12:13]
	v_mov_b32_e32 v6, 0
	s_and_saveexec_b64 s[12:13], s[10:11]
.LBB6_1989:
	v_lshrrev_b32_e32 v2, 24, v2
	s_movk_i32 s10, 0x80
	v_and_or_b32 v6, v2, s10, v3
.LBB6_1990:
	s_or_b64 exec, exec, s[12:13]
.LBB6_1991:
	s_or_b64 exec, exec, s[8:9]
	global_store_byte v[4:5], v6, off
.LBB6_1992:
	s_mov_b64 s[8:9], 0
.LBB6_1993:
	s_and_b64 vcc, exec, s[8:9]
	s_cbranch_vccz .LBB6_2033
; %bb.1994:
	s_cmp_gt_i32 s14, 22
	s_mov_b64 s[2:3], -1
	s_cbranch_scc0 .LBB6_2026
; %bb.1995:
	s_cmp_lt_i32 s14, 24
	s_cbranch_scc1 .LBB6_2015
; %bb.1996:
	s_cmp_gt_i32 s14, 24
	s_cbranch_scc0 .LBB6_2004
; %bb.1997:
	v_cvt_f32_f64_e32 v2, v[0:1]
	s_mov_b32 s2, 0x47800000
	v_mov_b32_e32 v6, 0x80
	v_and_b32_e32 v3, 0x7fffffff, v2
	v_cmp_gt_u32_e32 vcc, s2, v3
	s_and_saveexec_b64 s[2:3], vcc
	s_cbranch_execz .LBB6_2003
; %bb.1998:
	s_mov_b32 s8, 0x37ffffff
	v_cmp_lt_u32_e32 vcc, s8, v3
	s_mov_b64 s[8:9], 0
                                        ; implicit-def: $vgpr3
	s_and_saveexec_b64 s[10:11], vcc
	s_xor_b64 s[10:11], exec, s[10:11]
	s_cbranch_execz .LBB6_2056
; %bb.1999:
	v_bfe_u32 v3, v2, 21, 1
	s_mov_b32 s12, 0x88fffff
	v_add3_u32 v3, v2, v3, s12
	s_mov_b64 s[8:9], exec
	v_lshrrev_b32_e32 v3, 21, v3
	s_andn2_saveexec_b64 s[10:11], s[10:11]
	s_cbranch_execnz .LBB6_2057
.LBB6_2000:
	s_or_b64 exec, exec, s[10:11]
	v_mov_b32_e32 v6, 0
	s_and_saveexec_b64 s[10:11], s[8:9]
.LBB6_2001:
	v_lshrrev_b32_e32 v2, 24, v2
	s_movk_i32 s8, 0x80
	v_and_or_b32 v6, v2, s8, v3
.LBB6_2002:
	s_or_b64 exec, exec, s[10:11]
.LBB6_2003:
	s_or_b64 exec, exec, s[2:3]
	s_mov_b64 s[2:3], 0
	global_store_byte v[4:5], v6, off
.LBB6_2004:
	s_and_b64 vcc, exec, s[2:3]
	s_cbranch_vccz .LBB6_2014
; %bb.2005:
	v_cvt_f32_f64_e32 v2, v[0:1]
	s_mov_b32 s2, 0x43f00000
                                        ; implicit-def: $vgpr3
	v_and_b32_e32 v6, 0x7fffffff, v2
	v_cmp_gt_u32_e32 vcc, s2, v6
	s_and_saveexec_b64 s[2:3], vcc
	s_xor_b64 s[2:3], exec, s[2:3]
	s_cbranch_execz .LBB6_2011
; %bb.2006:
	s_mov_b32 s8, 0x3c7fffff
	v_cmp_lt_u32_e32 vcc, s8, v6
                                        ; implicit-def: $vgpr3
	s_and_saveexec_b64 s[8:9], vcc
	s_xor_b64 s[8:9], exec, s[8:9]
; %bb.2007:
	v_bfe_u32 v3, v2, 20, 1
	s_mov_b32 s10, 0x407ffff
	v_add3_u32 v3, v2, v3, s10
	v_lshrrev_b32_e32 v6, 20, v3
	v_and_b32_e32 v3, 0xff00000, v3
	s_mov_b32 s10, 0x7f00000
	v_mov_b32_e32 v7, 0x7e
	v_cmp_ne_u32_e32 vcc, s10, v3
	v_cndmask_b32_e32 v3, v7, v6, vcc
; %bb.2008:
	s_andn2_saveexec_b64 s[8:9], s[8:9]
; %bb.2009:
	s_mov_b32 s10, 0x46800000
	v_add_f32_e64 v3, |v2|, s10
; %bb.2010:
	s_or_b64 exec, exec, s[8:9]
                                        ; implicit-def: $vgpr6
.LBB6_2011:
	s_andn2_saveexec_b64 s[2:3], s[2:3]
; %bb.2012:
	s_mov_b32 s8, 0x7f800000
	v_mov_b32_e32 v3, 0x7e
	v_mov_b32_e32 v7, 0x7f
	v_cmp_lt_u32_e32 vcc, s8, v6
	v_cndmask_b32_e32 v3, v3, v7, vcc
; %bb.2013:
	s_or_b64 exec, exec, s[2:3]
	v_lshrrev_b32_e32 v2, 24, v2
	s_movk_i32 s2, 0x80
	v_and_or_b32 v2, v2, s2, v3
	global_store_byte v[4:5], v2, off
.LBB6_2014:
	s_mov_b64 s[2:3], 0
.LBB6_2015:
	s_andn2_b64 vcc, exec, s[2:3]
	s_cbranch_vccnz .LBB6_2025
; %bb.2016:
	v_cvt_f32_f64_e32 v2, v[0:1]
	s_mov_b32 s2, 0x47800000
                                        ; implicit-def: $vgpr3
	v_and_b32_e32 v6, 0x7fffffff, v2
	v_cmp_gt_u32_e32 vcc, s2, v6
	s_and_saveexec_b64 s[2:3], vcc
	s_xor_b64 s[2:3], exec, s[2:3]
	s_cbranch_execz .LBB6_2022
; %bb.2017:
	s_mov_b32 s8, 0x387fffff
	v_cmp_lt_u32_e32 vcc, s8, v6
                                        ; implicit-def: $vgpr3
	s_and_saveexec_b64 s[8:9], vcc
	s_xor_b64 s[8:9], exec, s[8:9]
; %bb.2018:
	v_bfe_u32 v3, v2, 21, 1
	s_mov_b32 s10, 0x80fffff
	v_add3_u32 v3, v2, v3, s10
	v_lshrrev_b32_e32 v3, 21, v3
; %bb.2019:
	s_andn2_saveexec_b64 s[8:9], s[8:9]
; %bb.2020:
	s_mov_b32 s10, 0x43000000
	v_add_f32_e64 v3, |v2|, s10
; %bb.2021:
	s_or_b64 exec, exec, s[8:9]
                                        ; implicit-def: $vgpr6
.LBB6_2022:
	s_andn2_saveexec_b64 s[2:3], s[2:3]
; %bb.2023:
	s_mov_b32 s8, 0x7f800000
	v_mov_b32_e32 v3, 0x7c
	v_mov_b32_e32 v7, 0x7f
	v_cmp_lt_u32_e32 vcc, s8, v6
	v_cndmask_b32_e32 v3, v3, v7, vcc
; %bb.2024:
	s_or_b64 exec, exec, s[2:3]
	v_lshrrev_b32_e32 v2, 24, v2
	s_movk_i32 s2, 0x80
	v_and_or_b32 v2, v2, s2, v3
	global_store_byte v[4:5], v2, off
.LBB6_2025:
	s_mov_b64 s[2:3], 0
.LBB6_2026:
	s_andn2_b64 vcc, exec, s[2:3]
	s_mov_b64 s[2:3], 0
	s_cbranch_vccnz .LBB6_2033
; %bb.2027:
	s_cmp_gt_i32 s14, 14
	s_mov_b64 s[8:9], -1
	s_cbranch_scc0 .LBB6_2031
; %bb.2028:
	s_cmp_eq_u32 s14, 15
	s_mov_b64 s[0:1], -1
	s_cbranch_scc0 .LBB6_2030
; %bb.2029:
	v_cvt_f32_f64_e32 v2, v[0:1]
	s_movk_i32 s0, 0x7fff
	v_mov_b32_e32 v3, 0x7fc0
	v_bfe_u32 v6, v2, 16, 1
	v_cmp_o_f32_e32 vcc, v2, v2
	v_add3_u32 v2, v2, v6, s0
	v_cndmask_b32_sdwa v2, v3, v2, vcc dst_sel:DWORD dst_unused:UNUSED_PAD src0_sel:DWORD src1_sel:WORD_1
	global_store_short v[4:5], v2, off
	s_mov_b64 s[0:1], 0
.LBB6_2030:
	s_mov_b64 s[8:9], 0
.LBB6_2031:
	s_and_b64 vcc, exec, s[8:9]
	s_cbranch_vccz .LBB6_2033
; %bb.2032:
	s_cmp_lg_u32 s14, 11
	s_mov_b64 s[2:3], -1
	s_cselect_b64 s[0:1], -1, 0
.LBB6_2033:
	s_and_b64 vcc, exec, s[0:1]
	s_cbranch_vccnz .LBB6_2055
.LBB6_2034:
	s_mov_b64 s[0:1], 0
	s_branch .LBB6_1636
.LBB6_2035:
	s_mov_b64 s[0:1], 0
                                        ; implicit-def: $sgpr20
                                        ; implicit-def: $vgpr4_vgpr5
	s_branch .LBB6_1635
.LBB6_2036:
	s_mov_b64 s[2:3], 0
	s_mov_b64 s[0:1], -1
	s_branch .LBB6_1636
.LBB6_2037:
	s_trap 2
	s_or_b64 s[16:17], s[16:17], exec
	s_cbranch_execz .LBB6_1502
	s_branch .LBB6_1503
.LBB6_2038:
	s_andn2_saveexec_b64 s[18:19], s[18:19]
	s_cbranch_execz .LBB6_1584
.LBB6_2039:
	s_mov_b32 s21, 0x46000000
	v_add_f32_e64 v9, |v8|, s21
	v_and_b32_e32 v9, 0xff, v9
	v_cmp_ne_u32_e32 vcc, 0, v9
	s_andn2_b64 s[14:15], s[14:15], exec
	s_and_b64 s[22:23], vcc, exec
	s_or_b64 s[14:15], s[14:15], s[22:23]
	s_or_b64 exec, exec, s[18:19]
	v_mov_b32_e32 v13, 0
	s_and_saveexec_b64 s[18:19], s[14:15]
	s_cbranch_execnz .LBB6_1585
	s_branch .LBB6_1586
.LBB6_2040:
	s_trap 2
	s_or_b64 s[16:17], s[16:17], exec
	s_cbranch_execz .LBB6_1632
	s_branch .LBB6_1633
.LBB6_2041:
	s_andn2_saveexec_b64 s[14:15], s[14:15]
	s_cbranch_execz .LBB6_1597
.LBB6_2042:
	s_mov_b32 s18, 0x42800000
	v_add_f32_e64 v9, |v8|, s18
	v_and_b32_e32 v9, 0xff, v9
	v_cmp_ne_u32_e32 vcc, 0, v9
	s_andn2_b64 s[10:11], s[10:11], exec
	s_and_b64 s[18:19], vcc, exec
	s_or_b64 s[10:11], s[10:11], s[18:19]
	s_or_b64 exec, exec, s[14:15]
	v_mov_b32_e32 v13, 0
	s_and_saveexec_b64 s[14:15], s[10:11]
	s_cbranch_execnz .LBB6_1598
	s_branch .LBB6_1599
.LBB6_2043:
	s_andn2_saveexec_b64 s[14:15], s[14:15]
	s_cbranch_execz .LBB6_1749
.LBB6_2044:
	s_mov_b32 s21, 0x46000000
	v_add_f32_e64 v7, |v6|, s21
	v_and_b32_e32 v7, 0xff, v7
	v_cmp_ne_u32_e32 vcc, 0, v7
	s_andn2_b64 s[12:13], s[12:13], exec
	s_and_b64 s[22:23], vcc, exec
	s_or_b64 s[12:13], s[12:13], s[22:23]
	s_or_b64 exec, exec, s[14:15]
	v_mov_b32_e32 v11, 0
	s_and_saveexec_b64 s[14:15], s[12:13]
	s_cbranch_execnz .LBB6_1750
	s_branch .LBB6_1751
.LBB6_2045:
	s_trap 2
	s_or_b64 s[16:17], s[16:17], exec
	s_cbranch_execz .LBB6_1797
	s_branch .LBB6_1798
.LBB6_2046:
	s_andn2_saveexec_b64 s[12:13], s[12:13]
	s_cbranch_execz .LBB6_1762
.LBB6_2047:
	s_mov_b32 s14, 0x42800000
	v_add_f32_e64 v7, |v6|, s14
	v_and_b32_e32 v7, 0xff, v7
	v_cmp_ne_u32_e32 vcc, 0, v7
	s_andn2_b64 s[10:11], s[10:11], exec
	s_and_b64 s[14:15], vcc, exec
	s_or_b64 s[10:11], s[10:11], s[14:15]
	s_or_b64 exec, exec, s[12:13]
	v_mov_b32_e32 v11, 0
	s_and_saveexec_b64 s[12:13], s[10:11]
	s_cbranch_execnz .LBB6_1763
	s_branch .LBB6_1764
.LBB6_2048:
	s_andn2_saveexec_b64 s[14:15], s[14:15]
	s_cbranch_execz .LBB6_1868
.LBB6_2049:
	s_mov_b32 s21, 0x46000000
	v_add_f32_e64 v5, |v4|, s21
	v_and_b32_e32 v5, 0xff, v5
	v_cmp_ne_u32_e32 vcc, 0, v5
	s_andn2_b64 s[12:13], s[12:13], exec
	s_and_b64 s[22:23], vcc, exec
	s_or_b64 s[12:13], s[12:13], s[22:23]
	s_or_b64 exec, exec, s[14:15]
	v_mov_b32_e32 v9, 0
	s_and_saveexec_b64 s[14:15], s[12:13]
	s_cbranch_execnz .LBB6_1869
	s_branch .LBB6_1870
.LBB6_2050:
	s_trap 2
	s_or_b64 s[16:17], s[16:17], exec
	s_cbranch_execz .LBB6_1916
	s_branch .LBB6_1917
.LBB6_2051:
	s_andn2_saveexec_b64 s[12:13], s[12:13]
	s_cbranch_execz .LBB6_1881
.LBB6_2052:
	s_mov_b32 s14, 0x42800000
	v_add_f32_e64 v5, |v4|, s14
	v_and_b32_e32 v5, 0xff, v5
	v_cmp_ne_u32_e32 vcc, 0, v5
	s_andn2_b64 s[10:11], s[10:11], exec
	s_and_b64 s[14:15], vcc, exec
	s_or_b64 s[10:11], s[10:11], s[14:15]
	s_or_b64 exec, exec, s[12:13]
	v_mov_b32_e32 v9, 0
	s_and_saveexec_b64 s[12:13], s[10:11]
	s_cbranch_execnz .LBB6_1882
	s_branch .LBB6_1883
.LBB6_2053:
	s_andn2_saveexec_b64 s[12:13], s[12:13]
	s_cbranch_execz .LBB6_1988
.LBB6_2054:
	s_mov_b32 s15, 0x46000000
	v_add_f32_e64 v3, |v2|, s15
	v_and_b32_e32 v3, 0xff, v3
	v_cmp_ne_u32_e32 vcc, 0, v3
	s_andn2_b64 s[10:11], s[10:11], exec
	s_and_b64 s[18:19], vcc, exec
	s_or_b64 s[10:11], s[10:11], s[18:19]
	s_or_b64 exec, exec, s[12:13]
	v_mov_b32_e32 v6, 0
	s_and_saveexec_b64 s[12:13], s[10:11]
	s_cbranch_execnz .LBB6_1989
	s_branch .LBB6_1990
.LBB6_2055:
	s_mov_b64 s[2:3], 0
	s_or_b64 s[16:17], s[16:17], exec
	s_trap 2
	s_branch .LBB6_2034
.LBB6_2056:
	s_andn2_saveexec_b64 s[10:11], s[10:11]
	s_cbranch_execz .LBB6_2000
.LBB6_2057:
	s_mov_b32 s12, 0x42800000
	v_add_f32_e64 v3, |v2|, s12
	v_and_b32_e32 v3, 0xff, v3
	v_cmp_ne_u32_e32 vcc, 0, v3
	s_andn2_b64 s[8:9], s[8:9], exec
	s_and_b64 s[12:13], vcc, exec
	s_or_b64 s[8:9], s[8:9], s[12:13]
	s_or_b64 exec, exec, s[10:11]
	v_mov_b32_e32 v6, 0
	s_and_saveexec_b64 s[10:11], s[8:9]
	s_cbranch_execnz .LBB6_2001
	s_branch .LBB6_2002
	.section	.rodata,"a",@progbits
	.p2align	6, 0x0
	.amdhsa_kernel _ZN2at6native32elementwise_kernel_manual_unrollILi128ELi4EZNS0_15gpu_kernel_implIZZZNS0_12_GLOBAL__N_124renorm_scale_factor_implERNS_18TensorIteratorBaseEdENKUlvE_clEvENKUlvE_clEvEUldE_EEvS5_RKT_EUlibE_EEviT1_
		.amdhsa_group_segment_fixed_size 0
		.amdhsa_private_segment_fixed_size 0
		.amdhsa_kernarg_size 48
		.amdhsa_user_sgpr_count 6
		.amdhsa_user_sgpr_private_segment_buffer 1
		.amdhsa_user_sgpr_dispatch_ptr 0
		.amdhsa_user_sgpr_queue_ptr 0
		.amdhsa_user_sgpr_kernarg_segment_ptr 1
		.amdhsa_user_sgpr_dispatch_id 0
		.amdhsa_user_sgpr_flat_scratch_init 0
		.amdhsa_user_sgpr_private_segment_size 0
		.amdhsa_uses_dynamic_stack 0
		.amdhsa_system_sgpr_private_segment_wavefront_offset 0
		.amdhsa_system_sgpr_workgroup_id_x 1
		.amdhsa_system_sgpr_workgroup_id_y 0
		.amdhsa_system_sgpr_workgroup_id_z 0
		.amdhsa_system_sgpr_workgroup_info 0
		.amdhsa_system_vgpr_workitem_id 0
		.amdhsa_next_free_vgpr 17
		.amdhsa_next_free_sgpr 46
		.amdhsa_reserve_vcc 1
		.amdhsa_reserve_flat_scratch 0
		.amdhsa_float_round_mode_32 0
		.amdhsa_float_round_mode_16_64 0
		.amdhsa_float_denorm_mode_32 3
		.amdhsa_float_denorm_mode_16_64 3
		.amdhsa_dx10_clamp 1
		.amdhsa_ieee_mode 1
		.amdhsa_fp16_overflow 0
		.amdhsa_exception_fp_ieee_invalid_op 0
		.amdhsa_exception_fp_denorm_src 0
		.amdhsa_exception_fp_ieee_div_zero 0
		.amdhsa_exception_fp_ieee_overflow 0
		.amdhsa_exception_fp_ieee_underflow 0
		.amdhsa_exception_fp_ieee_inexact 0
		.amdhsa_exception_int_div_zero 0
	.end_amdhsa_kernel
	.section	.text._ZN2at6native32elementwise_kernel_manual_unrollILi128ELi4EZNS0_15gpu_kernel_implIZZZNS0_12_GLOBAL__N_124renorm_scale_factor_implERNS_18TensorIteratorBaseEdENKUlvE_clEvENKUlvE_clEvEUldE_EEvS5_RKT_EUlibE_EEviT1_,"axG",@progbits,_ZN2at6native32elementwise_kernel_manual_unrollILi128ELi4EZNS0_15gpu_kernel_implIZZZNS0_12_GLOBAL__N_124renorm_scale_factor_implERNS_18TensorIteratorBaseEdENKUlvE_clEvENKUlvE_clEvEUldE_EEvS5_RKT_EUlibE_EEviT1_,comdat
.Lfunc_end6:
	.size	_ZN2at6native32elementwise_kernel_manual_unrollILi128ELi4EZNS0_15gpu_kernel_implIZZZNS0_12_GLOBAL__N_124renorm_scale_factor_implERNS_18TensorIteratorBaseEdENKUlvE_clEvENKUlvE_clEvEUldE_EEvS5_RKT_EUlibE_EEviT1_, .Lfunc_end6-_ZN2at6native32elementwise_kernel_manual_unrollILi128ELi4EZNS0_15gpu_kernel_implIZZZNS0_12_GLOBAL__N_124renorm_scale_factor_implERNS_18TensorIteratorBaseEdENKUlvE_clEvENKUlvE_clEvEUldE_EEvS5_RKT_EUlibE_EEviT1_
                                        ; -- End function
	.set _ZN2at6native32elementwise_kernel_manual_unrollILi128ELi4EZNS0_15gpu_kernel_implIZZZNS0_12_GLOBAL__N_124renorm_scale_factor_implERNS_18TensorIteratorBaseEdENKUlvE_clEvENKUlvE_clEvEUldE_EEvS5_RKT_EUlibE_EEviT1_.num_vgpr, 17
	.set _ZN2at6native32elementwise_kernel_manual_unrollILi128ELi4EZNS0_15gpu_kernel_implIZZZNS0_12_GLOBAL__N_124renorm_scale_factor_implERNS_18TensorIteratorBaseEdENKUlvE_clEvENKUlvE_clEvEUldE_EEvS5_RKT_EUlibE_EEviT1_.num_agpr, 0
	.set _ZN2at6native32elementwise_kernel_manual_unrollILi128ELi4EZNS0_15gpu_kernel_implIZZZNS0_12_GLOBAL__N_124renorm_scale_factor_implERNS_18TensorIteratorBaseEdENKUlvE_clEvENKUlvE_clEvEUldE_EEvS5_RKT_EUlibE_EEviT1_.numbered_sgpr, 46
	.set _ZN2at6native32elementwise_kernel_manual_unrollILi128ELi4EZNS0_15gpu_kernel_implIZZZNS0_12_GLOBAL__N_124renorm_scale_factor_implERNS_18TensorIteratorBaseEdENKUlvE_clEvENKUlvE_clEvEUldE_EEvS5_RKT_EUlibE_EEviT1_.num_named_barrier, 0
	.set _ZN2at6native32elementwise_kernel_manual_unrollILi128ELi4EZNS0_15gpu_kernel_implIZZZNS0_12_GLOBAL__N_124renorm_scale_factor_implERNS_18TensorIteratorBaseEdENKUlvE_clEvENKUlvE_clEvEUldE_EEvS5_RKT_EUlibE_EEviT1_.private_seg_size, 0
	.set _ZN2at6native32elementwise_kernel_manual_unrollILi128ELi4EZNS0_15gpu_kernel_implIZZZNS0_12_GLOBAL__N_124renorm_scale_factor_implERNS_18TensorIteratorBaseEdENKUlvE_clEvENKUlvE_clEvEUldE_EEvS5_RKT_EUlibE_EEviT1_.uses_vcc, 1
	.set _ZN2at6native32elementwise_kernel_manual_unrollILi128ELi4EZNS0_15gpu_kernel_implIZZZNS0_12_GLOBAL__N_124renorm_scale_factor_implERNS_18TensorIteratorBaseEdENKUlvE_clEvENKUlvE_clEvEUldE_EEvS5_RKT_EUlibE_EEviT1_.uses_flat_scratch, 0
	.set _ZN2at6native32elementwise_kernel_manual_unrollILi128ELi4EZNS0_15gpu_kernel_implIZZZNS0_12_GLOBAL__N_124renorm_scale_factor_implERNS_18TensorIteratorBaseEdENKUlvE_clEvENKUlvE_clEvEUldE_EEvS5_RKT_EUlibE_EEviT1_.has_dyn_sized_stack, 0
	.set _ZN2at6native32elementwise_kernel_manual_unrollILi128ELi4EZNS0_15gpu_kernel_implIZZZNS0_12_GLOBAL__N_124renorm_scale_factor_implERNS_18TensorIteratorBaseEdENKUlvE_clEvENKUlvE_clEvEUldE_EEvS5_RKT_EUlibE_EEviT1_.has_recursion, 0
	.set _ZN2at6native32elementwise_kernel_manual_unrollILi128ELi4EZNS0_15gpu_kernel_implIZZZNS0_12_GLOBAL__N_124renorm_scale_factor_implERNS_18TensorIteratorBaseEdENKUlvE_clEvENKUlvE_clEvEUldE_EEvS5_RKT_EUlibE_EEviT1_.has_indirect_call, 0
	.section	.AMDGPU.csdata,"",@progbits
; Kernel info:
; codeLenInByte = 36476
; TotalNumSgprs: 50
; NumVgprs: 17
; ScratchSize: 0
; MemoryBound: 1
; FloatMode: 240
; IeeeMode: 1
; LDSByteSize: 0 bytes/workgroup (compile time only)
; SGPRBlocks: 6
; VGPRBlocks: 4
; NumSGPRsForWavesPerEU: 50
; NumVGPRsForWavesPerEU: 17
; Occupancy: 10
; WaveLimiterHint : 0
; COMPUTE_PGM_RSRC2:SCRATCH_EN: 0
; COMPUTE_PGM_RSRC2:USER_SGPR: 6
; COMPUTE_PGM_RSRC2:TRAP_HANDLER: 0
; COMPUTE_PGM_RSRC2:TGID_X_EN: 1
; COMPUTE_PGM_RSRC2:TGID_Y_EN: 0
; COMPUTE_PGM_RSRC2:TGID_Z_EN: 0
; COMPUTE_PGM_RSRC2:TIDIG_COMP_CNT: 0
	.section	.text._ZN2at6native32elementwise_kernel_manual_unrollILi128ELi4EZNS0_15gpu_kernel_implIZZZNS0_12_GLOBAL__N_124renorm_scale_factor_implERNS_18TensorIteratorBaseEdENKUlvE_clEvENKUlvE_clEvEUldE_EEvS5_RKT_EUlibE0_EEviT1_,"axG",@progbits,_ZN2at6native32elementwise_kernel_manual_unrollILi128ELi4EZNS0_15gpu_kernel_implIZZZNS0_12_GLOBAL__N_124renorm_scale_factor_implERNS_18TensorIteratorBaseEdENKUlvE_clEvENKUlvE_clEvEUldE_EEvS5_RKT_EUlibE0_EEviT1_,comdat
	.globl	_ZN2at6native32elementwise_kernel_manual_unrollILi128ELi4EZNS0_15gpu_kernel_implIZZZNS0_12_GLOBAL__N_124renorm_scale_factor_implERNS_18TensorIteratorBaseEdENKUlvE_clEvENKUlvE_clEvEUldE_EEvS5_RKT_EUlibE0_EEviT1_ ; -- Begin function _ZN2at6native32elementwise_kernel_manual_unrollILi128ELi4EZNS0_15gpu_kernel_implIZZZNS0_12_GLOBAL__N_124renorm_scale_factor_implERNS_18TensorIteratorBaseEdENKUlvE_clEvENKUlvE_clEvEUldE_EEvS5_RKT_EUlibE0_EEviT1_
	.p2align	8
	.type	_ZN2at6native32elementwise_kernel_manual_unrollILi128ELi4EZNS0_15gpu_kernel_implIZZZNS0_12_GLOBAL__N_124renorm_scale_factor_implERNS_18TensorIteratorBaseEdENKUlvE_clEvENKUlvE_clEvEUldE_EEvS5_RKT_EUlibE0_EEviT1_,@function
_ZN2at6native32elementwise_kernel_manual_unrollILi128ELi4EZNS0_15gpu_kernel_implIZZZNS0_12_GLOBAL__N_124renorm_scale_factor_implERNS_18TensorIteratorBaseEdENKUlvE_clEvENKUlvE_clEvEUldE_EEvS5_RKT_EUlibE0_EEviT1_: ; @_ZN2at6native32elementwise_kernel_manual_unrollILi128ELi4EZNS0_15gpu_kernel_implIZZZNS0_12_GLOBAL__N_124renorm_scale_factor_implERNS_18TensorIteratorBaseEdENKUlvE_clEvENKUlvE_clEvEUldE_EEvS5_RKT_EUlibE0_EEviT1_
; %bb.0:
	s_load_dword s72, s[4:5], 0x0
	s_load_dword s33, s[4:5], 0x8
	s_add_u32 s34, s4, 8
	s_addc_u32 s35, s5, 0
	v_lshl_or_b32 v10, s6, 9, v0
	v_or_b32_e32 v16, 0x180, v10
	s_waitcnt lgkmcnt(0)
	s_add_i32 s74, s33, -1
	s_cmp_gt_u32 s74, 1
	v_cmp_le_i32_e32 vcc, s72, v16
	s_cselect_b64 s[40:41], -1, 0
	s_mov_b64 s[6:7], 0
	s_mov_b64 s[28:29], 0
	s_and_saveexec_b64 s[0:1], vcc
	s_xor_b64 s[42:43], exec, s[0:1]
	s_cbranch_execz .LBB7_1094
; %bb.1:
	s_load_dwordx4 s[28:31], s[34:35], 0x4
	s_load_dwordx2 s[46:47], s[34:35], 0x14
	s_load_dwordx2 s[44:45], s[34:35], 0x158
	s_load_dword s75, s[34:35], 0x160
	s_cmp_lg_u32 s33, 0
	s_load_dwordx4 s[36:39], s[34:35], 0xc4
	s_load_dwordx4 s[24:27], s[34:35], 0x148
	s_cselect_b64 s[52:53], -1, 0
	s_add_u32 s50, s34, 0xc4
	s_addc_u32 s51, s35, 0
	s_min_u32 s77, s74, 15
	s_cmp_gt_u32 s33, 1
	s_cselect_b64 s[48:49], -1, 0
	s_waitcnt lgkmcnt(0)
	s_bfe_u32 s76, s75, 0x80008
	v_cmp_gt_i32_e32 vcc, s72, v10
	s_mov_b64 s[2:3], -1
	s_mov_b64 s[62:63], 0
	s_mov_b64 s[56:57], 0
	;; [unrolled: 1-line block ×3, first 2 shown]
	s_and_saveexec_b64 s[58:59], vcc
	s_cbranch_execz .LBB7_268
; %bb.2:
	s_andn2_b64 vcc, exec, s[40:41]
	s_cbranch_vccnz .LBB7_7
; %bb.3:
	s_andn2_b64 vcc, exec, s[52:53]
	s_cbranch_vccnz .LBB7_8
; %bb.4:
	s_add_i32 s61, s77, 1
	s_cmp_eq_u32 s74, 2
	s_cbranch_scc1 .LBB7_9
; %bb.5:
	s_and_b32 s60, s61, 28
	v_mov_b32_e32 v0, 0
	s_mov_b32 s64, 0
	s_mov_b64 s[54:55], s[34:35]
	s_mov_b64 s[56:57], s[50:51]
	v_mov_b32_e32 v2, 0
	v_mov_b32_e32 v1, v10
.LBB7_6:                                ; =>This Inner Loop Header: Depth=1
	s_load_dwordx8 s[16:23], s[54:55], 0x4
	s_load_dwordx4 s[0:3], s[54:55], 0x24
	s_load_dwordx8 s[8:15], s[56:57], 0x0
	s_add_u32 s54, s54, 48
	s_addc_u32 s55, s55, 0
	s_waitcnt lgkmcnt(0)
	v_mul_hi_u32 v3, s17, v1
	s_add_i32 s64, s64, 4
	s_add_u32 s56, s56, 32
	s_addc_u32 s57, s57, 0
	v_add_u32_e32 v3, v1, v3
	v_lshrrev_b32_e32 v3, s18, v3
	v_mul_lo_u32 v4, v3, s16
	v_mul_hi_u32 v5, s20, v3
	s_cmp_lg_u32 s60, s64
	v_sub_u32_e32 v1, v1, v4
	v_add_u32_e32 v4, v3, v5
	v_mul_lo_u32 v5, v1, s8
	v_mul_lo_u32 v6, v1, s9
	v_lshrrev_b32_e32 v1, s21, v4
	v_mul_lo_u32 v4, v1, s19
	v_mul_hi_u32 v7, s23, v1
	v_sub_u32_e32 v3, v3, v4
	v_add_u32_e32 v4, v1, v7
	v_lshrrev_b32_e32 v4, s0, v4
	v_mul_hi_u32 v8, s2, v4
	v_mul_lo_u32 v9, v4, s22
	v_mul_lo_u32 v7, v3, s10
	;; [unrolled: 1-line block ×3, first 2 shown]
	v_sub_u32_e32 v9, v1, v9
	v_add_u32_e32 v1, v4, v8
	v_lshrrev_b32_e32 v1, s3, v1
	v_mul_lo_u32 v8, v1, s1
	v_mul_lo_u32 v11, v9, s12
	;; [unrolled: 1-line block ×3, first 2 shown]
	v_add3_u32 v2, v5, v2, v7
	v_sub_u32_e32 v4, v4, v8
	v_mul_lo_u32 v8, v4, s14
	v_mul_lo_u32 v4, v4, s15
	v_add3_u32 v0, v6, v0, v3
	v_add3_u32 v2, v11, v2, v8
	;; [unrolled: 1-line block ×3, first 2 shown]
	s_cbranch_scc1 .LBB7_6
	s_branch .LBB7_10
.LBB7_7:
                                        ; implicit-def: $vgpr2
                                        ; implicit-def: $vgpr0
	s_branch .LBB7_14
.LBB7_8:
	v_mov_b32_e32 v2, 0
	v_mov_b32_e32 v0, 0
	s_branch .LBB7_13
.LBB7_9:
	s_mov_b32 s60, 0
	v_mov_b32_e32 v2, 0
	v_mov_b32_e32 v0, 0
	;; [unrolled: 1-line block ×3, first 2 shown]
.LBB7_10:
	s_and_b32 s8, s61, 3
	s_cmp_eq_u32 s8, 0
	s_cbranch_scc1 .LBB7_13
; %bb.11:
	s_lshl_b32 s0, s60, 3
	s_add_u32 s0, s34, s0
	s_addc_u32 s1, s35, 0
	s_add_u32 s0, s0, 0xc4
	s_addc_u32 s1, s1, 0
	s_mul_i32 s2, s60, 12
	s_add_u32 s2, s34, s2
	s_addc_u32 s3, s35, 0
.LBB7_12:                               ; =>This Inner Loop Header: Depth=1
	s_load_dwordx2 s[10:11], s[2:3], 0x4
	s_load_dword s9, s[2:3], 0xc
	s_load_dwordx2 s[12:13], s[0:1], 0x0
	s_add_u32 s2, s2, 12
	s_addc_u32 s3, s3, 0
	s_waitcnt lgkmcnt(0)
	v_mul_hi_u32 v3, s11, v1
	s_add_u32 s0, s0, 8
	s_addc_u32 s1, s1, 0
	s_add_i32 s8, s8, -1
	v_add_u32_e32 v3, v1, v3
	v_lshrrev_b32_e32 v4, s9, v3
	v_mul_lo_u32 v3, v4, s10
	s_cmp_lg_u32 s8, 0
	v_sub_u32_e32 v1, v1, v3
	v_mad_u64_u32 v[2:3], s[10:11], v1, s12, v[2:3]
	v_mad_u64_u32 v[0:1], s[10:11], v1, s13, v[0:1]
	v_mov_b32_e32 v1, v4
	s_cbranch_scc1 .LBB7_12
.LBB7_13:
	s_cbranch_execnz .LBB7_16
.LBB7_14:
	v_mul_hi_u32 v0, s29, v10
	s_andn2_b64 vcc, exec, s[48:49]
	v_add_u32_e32 v0, v10, v0
	v_lshrrev_b32_e32 v1, s30, v0
	v_mul_lo_u32 v0, v1, s28
	v_sub_u32_e32 v0, v10, v0
	v_mul_lo_u32 v2, v0, s36
	v_mul_lo_u32 v0, v0, s37
	s_cbranch_vccnz .LBB7_16
; %bb.15:
	v_mul_hi_u32 v3, s46, v1
	v_add_u32_e32 v3, v1, v3
	v_lshrrev_b32_e32 v3, s47, v3
	v_mul_lo_u32 v3, v3, s31
	v_sub_u32_e32 v1, v1, v3
	v_mad_u64_u32 v[2:3], s[0:1], v1, s38, v[2:3]
	v_mad_u64_u32 v[0:1], s[0:1], v1, s39, v[0:1]
.LBB7_16:
	v_mov_b32_e32 v1, s27
	s_and_b32 s12, 0xffff, s76
	v_add_co_u32_e32 v0, vcc, s26, v0
	s_cmp_lt_i32 s12, 11
	v_addc_co_u32_e32 v1, vcc, 0, v1, vcc
	s_cbranch_scc1 .LBB7_23
; %bb.17:
	s_cmp_gt_i32 s12, 25
	s_cbranch_scc0 .LBB7_34
; %bb.18:
	s_cmp_gt_i32 s12, 28
	s_cbranch_scc0 .LBB7_37
	;; [unrolled: 3-line block ×4, first 2 shown]
; %bb.21:
	s_cmp_eq_u32 s12, 46
	s_mov_b64 s[8:9], 0
	s_cbranch_scc0 .LBB7_43
; %bb.22:
	global_load_dword v3, v[0:1], off
	s_mov_b64 s[0:1], -1
	s_mov_b64 s[2:3], 0
	s_waitcnt vmcnt(0)
	v_lshlrev_b32_e32 v3, 16, v3
	v_cvt_f64_f32_e32 v[3:4], v3
	s_branch .LBB7_45
.LBB7_23:
	s_mov_b64 s[2:3], 0
                                        ; implicit-def: $vgpr3_vgpr4
	s_mov_b64 s[0:1], 0
	s_cbranch_execnz .LBB7_218
.LBB7_24:
	s_andn2_b64 vcc, exec, s[0:1]
	s_cbranch_vccnz .LBB7_265
.LBB7_25:
	s_waitcnt vmcnt(0)
	v_cmp_lt_f64_e32 vcc, s[44:45], v[3:4]
	v_mov_b32_e32 v0, 0
	v_mov_b32_e32 v1, 0x3ff00000
	s_and_saveexec_b64 s[0:1], vcc
	s_cbranch_execz .LBB7_27
; %bb.26:
	s_mov_b32 s8, 0x9abcaf48
	s_mov_b32 s9, 0x3e7ad7f2
	v_add_f64 v[0:1], v[3:4], s[8:9]
	v_div_scale_f64 v[3:4], s[8:9], v[0:1], v[0:1], s[44:45]
	v_div_scale_f64 v[11:12], vcc, s[44:45], v[0:1], s[44:45]
	v_rcp_f64_e32 v[5:6], v[3:4]
	v_fma_f64 v[7:8], -v[3:4], v[5:6], 1.0
	v_fma_f64 v[5:6], v[5:6], v[7:8], v[5:6]
	v_fma_f64 v[7:8], -v[3:4], v[5:6], 1.0
	v_fma_f64 v[5:6], v[5:6], v[7:8], v[5:6]
	v_mul_f64 v[7:8], v[11:12], v[5:6]
	v_fma_f64 v[3:4], -v[3:4], v[7:8], v[11:12]
	v_div_fmas_f64 v[3:4], v[3:4], v[5:6], v[7:8]
	v_div_fixup_f64 v[0:1], v[3:4], v[0:1], s[44:45]
.LBB7_27:
	s_or_b64 exec, exec, s[0:1]
	v_mov_b32_e32 v3, s25
	s_and_b32 s14, s75, 0xff
	v_add_co_u32_e32 v4, vcc, s24, v2
	s_cmp_lt_i32 s14, 11
	v_addc_co_u32_e32 v5, vcc, 0, v3, vcc
	s_cbranch_scc1 .LBB7_35
; %bb.28:
	s_and_b32 s15, 0xffff, s14
	s_cmp_gt_i32 s15, 25
	s_cbranch_scc0 .LBB7_38
; %bb.29:
	s_cmp_gt_i32 s15, 28
	s_cbranch_scc0 .LBB7_40
; %bb.30:
	;; [unrolled: 3-line block ×4, first 2 shown]
	s_mov_b64 s[10:11], 0
	s_mov_b64 s[0:1], -1
	s_cmp_eq_u32 s15, 46
	s_mov_b64 s[8:9], 0
	s_cbranch_scc0 .LBB7_49
; %bb.33:
	v_cvt_f32_f64_e32 v2, v[0:1]
	s_movk_i32 s0, 0x7fff
	v_mov_b32_e32 v3, 0x7fc0
	s_mov_b64 s[8:9], -1
	v_bfe_u32 v6, v2, 16, 1
	v_cmp_o_f32_e32 vcc, v2, v2
	v_add3_u32 v2, v2, v6, s0
	v_cndmask_b32_sdwa v2, v3, v2, vcc dst_sel:DWORD dst_unused:UNUSED_PAD src0_sel:DWORD src1_sel:WORD_1
	global_store_dword v[4:5], v2, off
	s_mov_b64 s[0:1], 0
	s_branch .LBB7_49
.LBB7_34:
	s_mov_b64 s[2:3], 0
	s_mov_b64 s[0:1], 0
                                        ; implicit-def: $vgpr3_vgpr4
	s_cbranch_execnz .LBB7_185
	s_branch .LBB7_217
.LBB7_35:
	s_mov_b64 s[0:1], 0
	s_mov_b64 s[8:9], 0
	s_cbranch_execnz .LBB7_118
.LBB7_36:
	s_andn2_b64 vcc, exec, s[8:9]
	s_cbranch_vccnz .LBB7_266
	s_branch .LBB7_156
.LBB7_37:
	s_mov_b64 s[8:9], -1
	s_mov_b64 s[2:3], 0
	s_mov_b64 s[0:1], 0
                                        ; implicit-def: $vgpr3_vgpr4
	s_branch .LBB7_164
.LBB7_38:
	s_mov_b64 s[10:11], -1
	s_mov_b64 s[0:1], 0
	s_mov_b64 s[8:9], 0
	s_branch .LBB7_76
.LBB7_39:
	s_mov_b64 s[8:9], -1
	s_mov_b64 s[2:3], 0
	s_mov_b64 s[0:1], 0
                                        ; implicit-def: $vgpr3_vgpr4
	s_branch .LBB7_159
.LBB7_40:
	s_mov_b64 s[10:11], -1
	s_mov_b64 s[0:1], 0
	s_mov_b64 s[8:9], 0
	s_branch .LBB7_59
.LBB7_41:
	s_mov_b64 s[8:9], -1
	s_mov_b64 s[2:3], 0
	s_branch .LBB7_44
.LBB7_42:
	s_mov_b64 s[10:11], -1
	s_mov_b64 s[0:1], 0
	s_mov_b64 s[8:9], 0
	s_branch .LBB7_55
.LBB7_43:
	s_mov_b64 s[2:3], -1
.LBB7_44:
	s_mov_b64 s[0:1], 0
                                        ; implicit-def: $vgpr3_vgpr4
.LBB7_45:
	s_and_b64 vcc, exec, s[8:9]
	s_cbranch_vccz .LBB7_158
; %bb.46:
	s_cmp_eq_u32 s12, 44
	s_cbranch_scc0 .LBB7_157
; %bb.47:
	global_load_ubyte v5, v[0:1], off
	s_movk_i32 s2, 0xff
	v_bfrev_b32_e32 v6, 4
	v_mov_b32_e32 v7, 0x7ff80000
	v_bfrev_b32_e32 v8, 28
	s_mov_b64 s[0:1], -1
	s_waitcnt vmcnt(0)
	v_lshlrev_b32_e32 v3, 23, v5
	v_cvt_f64_f32_e32 v[3:4], v3
	v_cmp_ne_u32_e32 vcc, s2, v5
	s_mov_b64 s[2:3], 0
	v_cndmask_b32_e32 v3, v6, v3, vcc
	v_cndmask_b32_e32 v4, v7, v4, vcc
	v_cmp_ne_u32_e32 vcc, 0, v5
	v_cndmask_b32_e32 v4, v8, v4, vcc
	v_cndmask_b32_e32 v3, 0, v3, vcc
	s_branch .LBB7_158
.LBB7_48:
	s_mov_b64 s[10:11], -1
	s_mov_b64 s[0:1], 0
	s_mov_b64 s[8:9], 0
.LBB7_49:
	s_and_b64 vcc, exec, s[10:11]
	s_cbranch_vccz .LBB7_54
; %bb.50:
	s_cmp_eq_u32 s15, 44
	s_mov_b64 s[0:1], -1
	s_cbranch_scc0 .LBB7_54
; %bb.51:
	v_cvt_f32_f64_e32 v2, v[0:1]
	s_movk_i32 s0, 0xff
	v_mov_b32_e32 v6, 0xff
	v_bfe_u32 v3, v2, 23, 8
	v_cmp_ne_u32_e32 vcc, s0, v3
	s_and_saveexec_b64 s[8:9], vcc
; %bb.52:
	s_mov_b32 s0, 0x3fffff
	v_lshrrev_b32_e32 v6, 23, v2
	v_and_b32_e32 v7, 0x400000, v2
	v_and_or_b32 v2, v2, s0, v3
	v_cmp_ne_u32_e32 vcc, 0, v7
	v_cmp_ne_u32_e64 s[0:1], 0, v2
	s_and_b64 s[0:1], vcc, s[0:1]
	v_cndmask_b32_e64 v2, 0, 1, s[0:1]
	v_add_u32_e32 v6, v6, v2
; %bb.53:
	s_or_b64 exec, exec, s[8:9]
	s_mov_b64 s[8:9], -1
	s_mov_b64 s[0:1], 0
	global_store_byte v[4:5], v6, off
.LBB7_54:
	s_mov_b64 s[10:11], 0
.LBB7_55:
	s_and_b64 vcc, exec, s[10:11]
	s_cbranch_vccz .LBB7_58
; %bb.56:
	s_cmp_eq_u32 s15, 29
	s_mov_b64 s[0:1], -1
	s_cbranch_scc0 .LBB7_58
; %bb.57:
	v_trunc_f64_e32 v[2:3], v[0:1]
	s_movk_i32 s0, 0xffe0
	s_mov_b64 s[8:9], -1
	s_mov_b64 s[10:11], 0
	v_ldexp_f64 v[6:7], v[2:3], s0
	s_mov_b32 s0, 0
	s_mov_b32 s1, 0xc1f00000
	v_floor_f64_e32 v[6:7], v[6:7]
	v_fma_f64 v[2:3], v[6:7], s[0:1], v[2:3]
	v_cvt_u32_f64_e32 v7, v[6:7]
	s_mov_b64 s[0:1], 0
	v_cvt_u32_f64_e32 v6, v[2:3]
	global_store_dwordx2 v[4:5], v[6:7], off
	s_branch .LBB7_59
.LBB7_58:
	s_mov_b64 s[10:11], 0
.LBB7_59:
	s_and_b64 vcc, exec, s[10:11]
	s_cbranch_vccz .LBB7_75
; %bb.60:
	s_cmp_lt_i32 s15, 27
	s_mov_b64 s[8:9], -1
	s_cbranch_scc1 .LBB7_66
; %bb.61:
	v_cvt_u32_f64_e32 v2, v[0:1]
	s_cmp_gt_i32 s15, 27
	s_cbranch_scc0 .LBB7_63
; %bb.62:
	s_mov_b64 s[8:9], 0
	global_store_dword v[4:5], v2, off
.LBB7_63:
	s_andn2_b64 vcc, exec, s[8:9]
	s_cbranch_vccnz .LBB7_65
; %bb.64:
	global_store_short v[4:5], v2, off
.LBB7_65:
	s_mov_b64 s[8:9], 0
.LBB7_66:
	s_andn2_b64 vcc, exec, s[8:9]
	s_cbranch_vccnz .LBB7_74
; %bb.67:
	v_cvt_f32_f64_e32 v2, v[0:1]
	s_mov_b32 s8, 0x43800000
	v_mov_b32_e32 v6, 0x80
	v_and_b32_e32 v3, 0x7fffffff, v2
	v_cmp_gt_u32_e32 vcc, s8, v3
	s_and_saveexec_b64 s[8:9], vcc
	s_cbranch_execz .LBB7_73
; %bb.68:
	s_mov_b32 s10, 0x3bffffff
	v_cmp_lt_u32_e32 vcc, s10, v3
	s_mov_b64 s[10:11], 0
                                        ; implicit-def: $vgpr3
	s_and_saveexec_b64 s[12:13], vcc
	s_xor_b64 s[12:13], exec, s[12:13]
	s_cbranch_execz .LBB7_311
; %bb.69:
	v_bfe_u32 v3, v2, 20, 1
	s_mov_b32 s16, 0x487ffff
	v_add3_u32 v3, v2, v3, s16
	s_mov_b64 s[10:11], exec
	v_lshrrev_b32_e32 v3, 20, v3
	s_andn2_saveexec_b64 s[12:13], s[12:13]
	s_cbranch_execnz .LBB7_312
.LBB7_70:
	s_or_b64 exec, exec, s[12:13]
	v_mov_b32_e32 v6, 0
	s_and_saveexec_b64 s[12:13], s[10:11]
.LBB7_71:
	v_lshrrev_b32_e32 v2, 24, v2
	s_movk_i32 s10, 0x80
	v_and_or_b32 v6, v2, s10, v3
.LBB7_72:
	s_or_b64 exec, exec, s[12:13]
.LBB7_73:
	s_or_b64 exec, exec, s[8:9]
	global_store_byte v[4:5], v6, off
.LBB7_74:
	s_mov_b64 s[8:9], -1
.LBB7_75:
	s_mov_b64 s[10:11], 0
.LBB7_76:
	s_and_b64 vcc, exec, s[10:11]
	s_cbranch_vccz .LBB7_117
; %bb.77:
	s_cmp_gt_i32 s15, 22
	s_mov_b64 s[10:11], -1
	s_cbranch_scc0 .LBB7_109
; %bb.78:
	s_cmp_lt_i32 s15, 24
	s_mov_b64 s[8:9], -1
	s_cbranch_scc1 .LBB7_98
; %bb.79:
	s_cmp_gt_i32 s15, 24
	s_cbranch_scc0 .LBB7_87
; %bb.80:
	v_cvt_f32_f64_e32 v2, v[0:1]
	s_mov_b32 s8, 0x47800000
	v_mov_b32_e32 v6, 0x80
	v_and_b32_e32 v3, 0x7fffffff, v2
	v_cmp_gt_u32_e32 vcc, s8, v3
	s_and_saveexec_b64 s[8:9], vcc
	s_cbranch_execz .LBB7_86
; %bb.81:
	s_mov_b32 s10, 0x37ffffff
	v_cmp_lt_u32_e32 vcc, s10, v3
	s_mov_b64 s[10:11], 0
                                        ; implicit-def: $vgpr3
	s_and_saveexec_b64 s[12:13], vcc
	s_xor_b64 s[12:13], exec, s[12:13]
	s_cbranch_execz .LBB7_315
; %bb.82:
	v_bfe_u32 v3, v2, 21, 1
	s_mov_b32 s16, 0x88fffff
	v_add3_u32 v3, v2, v3, s16
	s_mov_b64 s[10:11], exec
	v_lshrrev_b32_e32 v3, 21, v3
	s_andn2_saveexec_b64 s[12:13], s[12:13]
	s_cbranch_execnz .LBB7_316
.LBB7_83:
	s_or_b64 exec, exec, s[12:13]
	v_mov_b32_e32 v6, 0
	s_and_saveexec_b64 s[12:13], s[10:11]
.LBB7_84:
	v_lshrrev_b32_e32 v2, 24, v2
	s_movk_i32 s10, 0x80
	v_and_or_b32 v6, v2, s10, v3
.LBB7_85:
	s_or_b64 exec, exec, s[12:13]
.LBB7_86:
	s_or_b64 exec, exec, s[8:9]
	s_mov_b64 s[8:9], 0
	global_store_byte v[4:5], v6, off
.LBB7_87:
	s_and_b64 vcc, exec, s[8:9]
	s_cbranch_vccz .LBB7_97
; %bb.88:
	v_cvt_f32_f64_e32 v2, v[0:1]
	s_mov_b32 s8, 0x43f00000
                                        ; implicit-def: $vgpr3
	v_and_b32_e32 v6, 0x7fffffff, v2
	v_cmp_gt_u32_e32 vcc, s8, v6
	s_and_saveexec_b64 s[8:9], vcc
	s_xor_b64 s[8:9], exec, s[8:9]
	s_cbranch_execz .LBB7_94
; %bb.89:
	s_mov_b32 s10, 0x3c7fffff
	v_cmp_lt_u32_e32 vcc, s10, v6
                                        ; implicit-def: $vgpr3
	s_and_saveexec_b64 s[10:11], vcc
	s_xor_b64 s[10:11], exec, s[10:11]
; %bb.90:
	v_bfe_u32 v3, v2, 20, 1
	s_mov_b32 s12, 0x407ffff
	v_add3_u32 v3, v2, v3, s12
	v_lshrrev_b32_e32 v6, 20, v3
	v_and_b32_e32 v3, 0xff00000, v3
	s_mov_b32 s12, 0x7f00000
	v_mov_b32_e32 v7, 0x7e
	v_cmp_ne_u32_e32 vcc, s12, v3
	v_cndmask_b32_e32 v3, v7, v6, vcc
; %bb.91:
	s_andn2_saveexec_b64 s[10:11], s[10:11]
; %bb.92:
	s_mov_b32 s12, 0x46800000
	v_add_f32_e64 v3, |v2|, s12
; %bb.93:
	s_or_b64 exec, exec, s[10:11]
                                        ; implicit-def: $vgpr6
.LBB7_94:
	s_andn2_saveexec_b64 s[8:9], s[8:9]
; %bb.95:
	s_mov_b32 s10, 0x7f800000
	v_mov_b32_e32 v3, 0x7e
	v_mov_b32_e32 v7, 0x7f
	v_cmp_lt_u32_e32 vcc, s10, v6
	v_cndmask_b32_e32 v3, v3, v7, vcc
; %bb.96:
	s_or_b64 exec, exec, s[8:9]
	v_lshrrev_b32_e32 v2, 24, v2
	s_movk_i32 s8, 0x80
	v_and_or_b32 v2, v2, s8, v3
	global_store_byte v[4:5], v2, off
.LBB7_97:
	s_mov_b64 s[8:9], 0
.LBB7_98:
	s_andn2_b64 vcc, exec, s[8:9]
	s_cbranch_vccnz .LBB7_108
; %bb.99:
	v_cvt_f32_f64_e32 v2, v[0:1]
	s_mov_b32 s8, 0x47800000
                                        ; implicit-def: $vgpr3
	v_and_b32_e32 v6, 0x7fffffff, v2
	v_cmp_gt_u32_e32 vcc, s8, v6
	s_and_saveexec_b64 s[8:9], vcc
	s_xor_b64 s[8:9], exec, s[8:9]
	s_cbranch_execz .LBB7_105
; %bb.100:
	s_mov_b32 s10, 0x387fffff
	v_cmp_lt_u32_e32 vcc, s10, v6
                                        ; implicit-def: $vgpr3
	s_and_saveexec_b64 s[10:11], vcc
	s_xor_b64 s[10:11], exec, s[10:11]
; %bb.101:
	v_bfe_u32 v3, v2, 21, 1
	s_mov_b32 s12, 0x80fffff
	v_add3_u32 v3, v2, v3, s12
	v_lshrrev_b32_e32 v3, 21, v3
; %bb.102:
	s_andn2_saveexec_b64 s[10:11], s[10:11]
; %bb.103:
	s_mov_b32 s12, 0x43000000
	v_add_f32_e64 v3, |v2|, s12
; %bb.104:
	s_or_b64 exec, exec, s[10:11]
                                        ; implicit-def: $vgpr6
.LBB7_105:
	s_andn2_saveexec_b64 s[8:9], s[8:9]
; %bb.106:
	s_mov_b32 s10, 0x7f800000
	v_mov_b32_e32 v3, 0x7c
	v_mov_b32_e32 v7, 0x7f
	v_cmp_lt_u32_e32 vcc, s10, v6
	v_cndmask_b32_e32 v3, v3, v7, vcc
; %bb.107:
	s_or_b64 exec, exec, s[8:9]
	v_lshrrev_b32_e32 v2, 24, v2
	s_movk_i32 s8, 0x80
	v_and_or_b32 v2, v2, s8, v3
	global_store_byte v[4:5], v2, off
.LBB7_108:
	s_mov_b64 s[10:11], 0
	s_mov_b64 s[8:9], -1
.LBB7_109:
	s_andn2_b64 vcc, exec, s[10:11]
	s_cbranch_vccnz .LBB7_117
; %bb.110:
	s_cmp_gt_i32 s15, 14
	s_mov_b64 s[10:11], -1
	s_cbranch_scc0 .LBB7_114
; %bb.111:
	s_cmp_eq_u32 s15, 15
	s_mov_b64 s[0:1], -1
	s_cbranch_scc0 .LBB7_113
; %bb.112:
	v_cvt_f32_f64_e32 v2, v[0:1]
	s_movk_i32 s0, 0x7fff
	v_mov_b32_e32 v3, 0x7fc0
	s_mov_b64 s[8:9], -1
	v_bfe_u32 v6, v2, 16, 1
	v_cmp_o_f32_e32 vcc, v2, v2
	v_add3_u32 v2, v2, v6, s0
	v_cndmask_b32_sdwa v2, v3, v2, vcc dst_sel:DWORD dst_unused:UNUSED_PAD src0_sel:DWORD src1_sel:WORD_1
	global_store_short v[4:5], v2, off
	s_mov_b64 s[0:1], 0
.LBB7_113:
	s_mov_b64 s[10:11], 0
.LBB7_114:
	s_and_b64 vcc, exec, s[10:11]
	s_cbranch_vccz .LBB7_117
; %bb.115:
	s_cmp_eq_u32 s15, 11
	s_mov_b64 s[0:1], -1
	s_cbranch_scc0 .LBB7_117
; %bb.116:
	v_cmp_neq_f64_e32 vcc, 0, v[0:1]
	s_mov_b64 s[0:1], 0
	s_mov_b64 s[8:9], -1
	v_cndmask_b32_e64 v2, 0, 1, vcc
	global_store_byte v[4:5], v2, off
.LBB7_117:
	s_branch .LBB7_36
.LBB7_118:
	s_and_b32 s10, 0xffff, s14
	s_cmp_lt_i32 s10, 5
	s_mov_b64 s[8:9], -1
	s_cbranch_scc1 .LBB7_139
; %bb.119:
	s_cmp_lt_i32 s10, 8
	s_cbranch_scc1 .LBB7_129
; %bb.120:
	s_cmp_lt_i32 s10, 9
	s_cbranch_scc1 .LBB7_126
; %bb.121:
	s_cmp_gt_i32 s10, 9
	s_cbranch_scc0 .LBB7_123
; %bb.122:
	v_mov_b32_e32 v2, 0
	v_mov_b32_e32 v3, v2
	global_store_dwordx4 v[4:5], v[0:3], off
	s_mov_b64 s[8:9], 0
.LBB7_123:
	s_andn2_b64 vcc, exec, s[8:9]
	s_cbranch_vccnz .LBB7_125
; %bb.124:
	v_cvt_f32_f64_e32 v2, v[0:1]
	v_mov_b32_e32 v3, 0
	global_store_dwordx2 v[4:5], v[2:3], off
.LBB7_125:
	s_mov_b64 s[8:9], 0
.LBB7_126:
	s_andn2_b64 vcc, exec, s[8:9]
	s_cbranch_vccnz .LBB7_128
; %bb.127:
	s_movk_i32 s8, 0x1ff
	v_and_or_b32 v2, v1, s8, v0
	v_cmp_ne_u32_e32 vcc, 0, v2
	v_cndmask_b32_e64 v2, 0, 1, vcc
	v_lshrrev_b32_e32 v3, 8, v1
	s_movk_i32 s8, 0xffe
	v_bfe_u32 v6, v1, 20, 11
	v_and_or_b32 v2, v3, s8, v2
	v_sub_u32_e32 v7, 0x3f1, v6
	v_or_b32_e32 v3, 0x1000, v2
	v_med3_i32 v7, v7, 0, 13
	v_lshrrev_b32_e32 v8, v7, v3
	v_lshlrev_b32_e32 v7, v7, v8
	v_cmp_ne_u32_e32 vcc, v7, v3
	v_cndmask_b32_e64 v3, 0, 1, vcc
	v_add_u32_e32 v6, 0xfffffc10, v6
	v_or_b32_e32 v3, v8, v3
	v_lshl_or_b32 v7, v6, 12, v2
	v_cmp_gt_i32_e32 vcc, 1, v6
	v_cndmask_b32_e32 v3, v7, v3, vcc
	v_and_b32_e32 v7, 7, v3
	v_cmp_lt_i32_e32 vcc, 5, v7
	v_cndmask_b32_e64 v8, 0, 1, vcc
	v_cmp_eq_u32_e32 vcc, 3, v7
	v_cndmask_b32_e64 v7, 0, 1, vcc
	v_or_b32_e32 v7, v7, v8
	v_lshrrev_b32_e32 v3, 2, v3
	v_add_u32_e32 v3, v3, v7
	v_mov_b32_e32 v7, 0x7c00
	v_cmp_gt_i32_e32 vcc, 31, v6
	v_cndmask_b32_e32 v3, v7, v3, vcc
	v_mov_b32_e32 v8, 0x7e00
	v_cmp_ne_u32_e32 vcc, 0, v2
	s_movk_i32 s8, 0x40f
	v_cndmask_b32_e32 v2, v7, v8, vcc
	v_cmp_eq_u32_e32 vcc, s8, v6
	v_cndmask_b32_e32 v2, v3, v2, vcc
	v_lshrrev_b32_e32 v3, 16, v1
	s_mov_b32 s8, 0x8000
	v_and_or_b32 v2, v3, s8, v2
	v_and_b32_e32 v2, 0xffff, v2
	global_store_dword v[4:5], v2, off
.LBB7_128:
	s_mov_b64 s[8:9], 0
.LBB7_129:
	s_andn2_b64 vcc, exec, s[8:9]
	s_cbranch_vccnz .LBB7_138
; %bb.130:
	s_cmp_lt_i32 s10, 6
	s_mov_b64 s[8:9], -1
	s_cbranch_scc1 .LBB7_136
; %bb.131:
	s_cmp_gt_i32 s10, 6
	s_cbranch_scc0 .LBB7_133
; %bb.132:
	global_store_dwordx2 v[4:5], v[0:1], off
	s_mov_b64 s[8:9], 0
.LBB7_133:
	s_andn2_b64 vcc, exec, s[8:9]
	s_cbranch_vccnz .LBB7_135
; %bb.134:
	v_cvt_f32_f64_e32 v2, v[0:1]
	global_store_dword v[4:5], v2, off
.LBB7_135:
	s_mov_b64 s[8:9], 0
.LBB7_136:
	s_andn2_b64 vcc, exec, s[8:9]
	s_cbranch_vccnz .LBB7_138
; %bb.137:
	s_movk_i32 s8, 0x1ff
	v_and_or_b32 v2, v1, s8, v0
	v_cmp_ne_u32_e32 vcc, 0, v2
	v_cndmask_b32_e64 v2, 0, 1, vcc
	v_lshrrev_b32_e32 v3, 8, v1
	s_movk_i32 s8, 0xffe
	v_bfe_u32 v6, v1, 20, 11
	v_and_or_b32 v2, v3, s8, v2
	v_sub_u32_e32 v7, 0x3f1, v6
	v_or_b32_e32 v3, 0x1000, v2
	v_med3_i32 v7, v7, 0, 13
	v_lshrrev_b32_e32 v8, v7, v3
	v_lshlrev_b32_e32 v7, v7, v8
	v_cmp_ne_u32_e32 vcc, v7, v3
	v_cndmask_b32_e64 v3, 0, 1, vcc
	v_add_u32_e32 v6, 0xfffffc10, v6
	v_or_b32_e32 v3, v8, v3
	v_lshl_or_b32 v7, v6, 12, v2
	v_cmp_gt_i32_e32 vcc, 1, v6
	v_cndmask_b32_e32 v3, v7, v3, vcc
	v_and_b32_e32 v7, 7, v3
	v_cmp_lt_i32_e32 vcc, 5, v7
	v_cndmask_b32_e64 v8, 0, 1, vcc
	v_cmp_eq_u32_e32 vcc, 3, v7
	v_cndmask_b32_e64 v7, 0, 1, vcc
	v_or_b32_e32 v7, v7, v8
	v_lshrrev_b32_e32 v3, 2, v3
	v_add_u32_e32 v3, v3, v7
	v_mov_b32_e32 v7, 0x7c00
	v_cmp_gt_i32_e32 vcc, 31, v6
	v_cndmask_b32_e32 v3, v7, v3, vcc
	v_mov_b32_e32 v8, 0x7e00
	v_cmp_ne_u32_e32 vcc, 0, v2
	s_movk_i32 s8, 0x40f
	v_cndmask_b32_e32 v2, v7, v8, vcc
	v_cmp_eq_u32_e32 vcc, s8, v6
	v_cndmask_b32_e32 v2, v3, v2, vcc
	v_lshrrev_b32_e32 v3, 16, v1
	s_mov_b32 s8, 0x8000
	v_and_or_b32 v2, v3, s8, v2
	global_store_short v[4:5], v2, off
.LBB7_138:
	s_mov_b64 s[8:9], 0
.LBB7_139:
	s_andn2_b64 vcc, exec, s[8:9]
	s_cbranch_vccnz .LBB7_155
; %bb.140:
	s_cmp_lt_i32 s10, 2
	s_mov_b64 s[8:9], -1
	s_cbranch_scc1 .LBB7_150
; %bb.141:
	s_cmp_lt_i32 s10, 3
	s_cbranch_scc1 .LBB7_147
; %bb.142:
	s_cmp_gt_i32 s10, 3
	s_cbranch_scc0 .LBB7_144
; %bb.143:
	v_trunc_f64_e32 v[2:3], v[0:1]
	s_movk_i32 s8, 0xffe0
	v_ldexp_f64 v[6:7], v[2:3], s8
	s_mov_b32 s8, 0
	s_mov_b32 s9, 0xc1f00000
	v_floor_f64_e32 v[6:7], v[6:7]
	v_fma_f64 v[2:3], v[6:7], s[8:9], v[2:3]
	v_cvt_i32_f64_e32 v7, v[6:7]
	s_mov_b64 s[8:9], 0
	v_cvt_u32_f64_e32 v6, v[2:3]
	global_store_dwordx2 v[4:5], v[6:7], off
.LBB7_144:
	s_andn2_b64 vcc, exec, s[8:9]
	s_cbranch_vccnz .LBB7_146
; %bb.145:
	v_cvt_i32_f64_e32 v2, v[0:1]
	global_store_dword v[4:5], v2, off
.LBB7_146:
	s_mov_b64 s[8:9], 0
.LBB7_147:
	s_andn2_b64 vcc, exec, s[8:9]
	s_cbranch_vccnz .LBB7_149
; %bb.148:
	v_cvt_i32_f64_e32 v2, v[0:1]
	global_store_short v[4:5], v2, off
.LBB7_149:
	s_mov_b64 s[8:9], 0
.LBB7_150:
	s_andn2_b64 vcc, exec, s[8:9]
	s_cbranch_vccnz .LBB7_155
; %bb.151:
	s_cmp_gt_i32 s10, 0
	s_mov_b64 s[8:9], -1
	s_cbranch_scc0 .LBB7_153
; %bb.152:
	v_cvt_i32_f64_e32 v2, v[0:1]
	s_mov_b64 s[8:9], 0
	global_store_byte v[4:5], v2, off
.LBB7_153:
	s_andn2_b64 vcc, exec, s[8:9]
	s_cbranch_vccnz .LBB7_155
; %bb.154:
	v_trunc_f64_e32 v[0:1], v[0:1]
	s_movk_i32 s8, 0xffe0
	v_ldexp_f64 v[2:3], v[0:1], s8
	s_mov_b32 s8, 0
	s_mov_b32 s9, 0xc1f00000
	v_floor_f64_e32 v[2:3], v[2:3]
	v_fma_f64 v[0:1], v[2:3], s[8:9], v[0:1]
	v_cvt_u32_f64_e32 v0, v[0:1]
	global_store_byte v[4:5], v0, off
.LBB7_155:
.LBB7_156:
	v_add_u32_e32 v10, 0x80, v10
	s_mov_b64 s[8:9], -1
	s_branch .LBB7_267
.LBB7_157:
	s_mov_b64 s[2:3], -1
                                        ; implicit-def: $vgpr3_vgpr4
.LBB7_158:
	s_mov_b64 s[8:9], 0
.LBB7_159:
	s_and_b64 vcc, exec, s[8:9]
	s_cbranch_vccz .LBB7_163
; %bb.160:
	s_cmp_eq_u32 s12, 29
	s_cbranch_scc0 .LBB7_162
; %bb.161:
	global_load_dwordx2 v[3:4], v[0:1], off
	s_mov_b64 s[0:1], -1
	s_mov_b64 s[2:3], 0
	s_mov_b64 s[8:9], 0
	s_waitcnt vmcnt(0)
	v_cvt_f64_u32_e32 v[4:5], v4
	v_cvt_f64_u32_e32 v[6:7], v3
	v_ldexp_f64 v[4:5], v[4:5], 32
	v_add_f64 v[3:4], v[4:5], v[6:7]
	s_branch .LBB7_164
.LBB7_162:
	s_mov_b64 s[2:3], -1
                                        ; implicit-def: $vgpr3_vgpr4
.LBB7_163:
	s_mov_b64 s[8:9], 0
.LBB7_164:
	s_and_b64 vcc, exec, s[8:9]
	s_cbranch_vccz .LBB7_184
; %bb.165:
	s_cmp_lt_i32 s12, 27
	s_cbranch_scc1 .LBB7_168
; %bb.166:
	s_cmp_gt_i32 s12, 27
	s_cbranch_scc0 .LBB7_169
; %bb.167:
	global_load_dword v3, v[0:1], off
	s_mov_b64 s[0:1], 0
	s_waitcnt vmcnt(0)
	v_cvt_f64_u32_e32 v[3:4], v3
	s_branch .LBB7_170
.LBB7_168:
	s_mov_b64 s[0:1], -1
                                        ; implicit-def: $vgpr3_vgpr4
	s_branch .LBB7_173
.LBB7_169:
	s_mov_b64 s[0:1], -1
                                        ; implicit-def: $vgpr3_vgpr4
.LBB7_170:
	s_andn2_b64 vcc, exec, s[0:1]
	s_cbranch_vccnz .LBB7_172
; %bb.171:
	global_load_ushort v3, v[0:1], off
	s_waitcnt vmcnt(0)
	v_cvt_f64_u32_e32 v[3:4], v3
.LBB7_172:
	s_mov_b64 s[0:1], 0
.LBB7_173:
	s_andn2_b64 vcc, exec, s[0:1]
	s_cbranch_vccnz .LBB7_183
; %bb.174:
	global_load_ubyte v5, v[0:1], off
	s_movk_i32 s0, 0x7f
	s_waitcnt vmcnt(0)
	v_cmp_lt_i16_e32 vcc, s0, v5
	s_mov_b64 s[0:1], 0
	s_and_saveexec_b64 s[8:9], vcc
	s_xor_b64 s[8:9], exec, s[8:9]
	s_cbranch_execz .LBB7_178
; %bb.175:
	s_movk_i32 s0, 0x80
	v_cmp_eq_u16_e32 vcc, s0, v5
	s_mov_b64 s[0:1], -1
	s_and_saveexec_b64 s[10:11], vcc
; %bb.176:
	s_xor_b64 s[0:1], exec, -1
; %bb.177:
	s_or_b64 exec, exec, s[10:11]
	s_and_b64 s[0:1], s[0:1], exec
.LBB7_178:
	s_or_saveexec_b64 s[8:9], s[8:9]
	v_bfrev_b32_e32 v3, 4
	v_mov_b32_e32 v4, 0x7ff80000
	s_xor_b64 exec, exec, s[8:9]
; %bb.179:
	v_cmp_ne_u16_e32 vcc, 0, v5
	v_mov_b32_e32 v3, 0
	s_andn2_b64 s[0:1], s[0:1], exec
	s_and_b64 s[10:11], vcc, exec
	v_mov_b32_e32 v4, 0
	s_or_b64 s[0:1], s[0:1], s[10:11]
; %bb.180:
	s_or_b64 exec, exec, s[8:9]
	s_and_saveexec_b64 s[8:9], s[0:1]
	s_cbranch_execz .LBB7_182
; %bb.181:
	v_and_b32_e32 v4, 0xffff, v5
	v_lshlrev_b32_e32 v3, 24, v5
	v_and_b32_e32 v5, 7, v4
	v_ffbh_u32_e32 v7, v5
	v_min_u32_e32 v7, 32, v7
	v_subrev_u32_e32 v8, 28, v7
	v_bfe_u32 v6, v4, 3, 4
	v_lshlrev_b32_e32 v4, v8, v4
	v_sub_u32_e32 v7, 29, v7
	v_and_b32_e32 v4, 7, v4
	v_cmp_eq_u32_e32 vcc, 0, v6
	v_cndmask_b32_e32 v6, v6, v7, vcc
	v_cndmask_b32_e32 v4, v5, v4, vcc
	v_mov_b32_e32 v5, 0x3b800000
	v_lshlrev_b32_e32 v4, 20, v4
	v_and_b32_e32 v3, 0x80000000, v3
	v_lshl_add_u32 v5, v6, 23, v5
	v_or3_b32 v3, v3, v5, v4
	v_cvt_f64_f32_e32 v[3:4], v3
.LBB7_182:
	s_or_b64 exec, exec, s[8:9]
.LBB7_183:
	s_mov_b64 s[0:1], -1
.LBB7_184:
	s_branch .LBB7_217
.LBB7_185:
	s_cmp_gt_i32 s12, 22
	s_cbranch_scc0 .LBB7_197
; %bb.186:
	s_cmp_lt_i32 s12, 24
	s_cbranch_scc1 .LBB7_198
; %bb.187:
	s_cmp_gt_i32 s12, 24
	s_cbranch_scc0 .LBB7_199
; %bb.188:
	global_load_ubyte v5, v[0:1], off
	s_movk_i32 s0, 0x7f
	s_waitcnt vmcnt(0)
	v_cmp_lt_i16_e32 vcc, s0, v5
	s_mov_b64 s[0:1], 0
	s_and_saveexec_b64 s[8:9], vcc
	s_xor_b64 s[8:9], exec, s[8:9]
	s_cbranch_execz .LBB7_192
; %bb.189:
	s_movk_i32 s0, 0x80
	v_cmp_eq_u16_e32 vcc, s0, v5
	s_mov_b64 s[0:1], -1
	s_and_saveexec_b64 s[10:11], vcc
; %bb.190:
	s_xor_b64 s[0:1], exec, -1
; %bb.191:
	s_or_b64 exec, exec, s[10:11]
	s_and_b64 s[0:1], s[0:1], exec
.LBB7_192:
	s_or_saveexec_b64 s[8:9], s[8:9]
	v_bfrev_b32_e32 v3, 4
	v_mov_b32_e32 v4, 0x7ff80000
	s_xor_b64 exec, exec, s[8:9]
; %bb.193:
	v_cmp_ne_u16_e32 vcc, 0, v5
	v_mov_b32_e32 v3, 0
	s_andn2_b64 s[0:1], s[0:1], exec
	s_and_b64 s[10:11], vcc, exec
	v_mov_b32_e32 v4, 0
	s_or_b64 s[0:1], s[0:1], s[10:11]
; %bb.194:
	s_or_b64 exec, exec, s[8:9]
	s_and_saveexec_b64 s[8:9], s[0:1]
	s_cbranch_execz .LBB7_196
; %bb.195:
	v_and_b32_e32 v4, 0xffff, v5
	v_lshlrev_b32_e32 v3, 24, v5
	v_and_b32_e32 v5, 3, v4
	v_ffbh_u32_e32 v7, v5
	v_min_u32_e32 v7, 32, v7
	v_subrev_u32_e32 v8, 29, v7
	v_bfe_u32 v6, v4, 2, 5
	v_lshlrev_b32_e32 v4, v8, v4
	v_sub_u32_e32 v7, 30, v7
	v_and_b32_e32 v4, 3, v4
	v_cmp_eq_u32_e32 vcc, 0, v6
	v_cndmask_b32_e32 v6, v6, v7, vcc
	v_cndmask_b32_e32 v4, v5, v4, vcc
	v_mov_b32_e32 v5, 0x37800000
	v_lshlrev_b32_e32 v4, 21, v4
	v_and_b32_e32 v3, 0x80000000, v3
	v_lshl_add_u32 v5, v6, 23, v5
	v_or3_b32 v3, v3, v5, v4
	v_cvt_f64_f32_e32 v[3:4], v3
.LBB7_196:
	s_or_b64 exec, exec, s[8:9]
	s_mov_b64 s[0:1], 0
	s_branch .LBB7_200
.LBB7_197:
	s_mov_b64 s[8:9], -1
                                        ; implicit-def: $vgpr3_vgpr4
	s_branch .LBB7_206
.LBB7_198:
	s_mov_b64 s[0:1], -1
                                        ; implicit-def: $vgpr3_vgpr4
	s_branch .LBB7_203
.LBB7_199:
	s_mov_b64 s[0:1], -1
                                        ; implicit-def: $vgpr3_vgpr4
.LBB7_200:
	s_and_b64 vcc, exec, s[0:1]
	s_cbranch_vccz .LBB7_202
; %bb.201:
	global_load_ubyte v3, v[0:1], off
	s_mov_b32 s0, 0x7f800000
	s_waitcnt vmcnt(0)
	v_lshlrev_b32_e32 v3, 24, v3
	v_and_b32_e32 v4, 0x7f000000, v3
	v_ffbh_u32_e32 v5, v4
	v_min_u32_e32 v5, 32, v5
	v_sub_u32_e64 v5, v5, 4 clamp
	v_lshlrev_b32_e32 v7, v5, v4
	v_lshlrev_b32_e32 v5, 23, v5
	v_lshrrev_b32_e32 v7, 4, v7
	v_add_u32_e32 v6, 0x1000000, v4
	v_sub_u32_e32 v5, v7, v5
	v_ashrrev_i32_e32 v6, 8, v6
	v_add_u32_e32 v5, 0x3c000000, v5
	v_and_or_b32 v5, v6, s0, v5
	v_cmp_ne_u32_e32 vcc, 0, v4
	v_cndmask_b32_e32 v4, 0, v5, vcc
	s_brev_b32 s0, 1
	v_and_or_b32 v3, v3, s0, v4
	v_cvt_f64_f32_e32 v[3:4], v3
.LBB7_202:
	s_mov_b64 s[0:1], 0
.LBB7_203:
	s_andn2_b64 vcc, exec, s[0:1]
	s_cbranch_vccnz .LBB7_205
; %bb.204:
	global_load_ubyte v3, v[0:1], off
	s_movk_i32 s0, 0x7f00
	s_brev_b32 s1, 16
	s_waitcnt vmcnt(0)
	v_lshlrev_b16_e32 v4, 8, v3
	v_lshlrev_b32_e32 v3, 25, v3
	v_lshrrev_b32_e32 v5, 4, v3
	v_and_or_b32 v6, v4, s0, 0.5
	v_or_b32_e32 v5, 0x70000000, v5
	v_add_f32_e32 v6, -0.5, v6
	v_mul_f32_e32 v5, 0x7800000, v5
	v_cmp_gt_u32_e32 vcc, s1, v3
	v_bfe_i32 v4, v4, 0, 16
	v_cndmask_b32_e32 v3, v5, v6, vcc
	s_brev_b32 s0, 1
	v_and_or_b32 v3, v4, s0, v3
	v_cvt_f64_f32_e32 v[3:4], v3
.LBB7_205:
	s_mov_b64 s[8:9], 0
	s_mov_b64 s[0:1], -1
.LBB7_206:
	s_andn2_b64 vcc, exec, s[8:9]
	s_cbranch_vccnz .LBB7_217
; %bb.207:
	s_cmp_gt_i32 s12, 14
	s_cbranch_scc0 .LBB7_210
; %bb.208:
	s_cmp_eq_u32 s12, 15
	s_cbranch_scc0 .LBB7_211
; %bb.209:
	global_load_ushort v3, v[0:1], off
	s_mov_b64 s[0:1], -1
	s_mov_b64 s[2:3], 0
	s_waitcnt vmcnt(0)
	v_lshlrev_b32_e32 v3, 16, v3
	v_cvt_f64_f32_e32 v[3:4], v3
	s_branch .LBB7_212
.LBB7_210:
	s_mov_b64 s[8:9], -1
                                        ; implicit-def: $vgpr3_vgpr4
	s_branch .LBB7_213
.LBB7_211:
	s_mov_b64 s[2:3], -1
                                        ; implicit-def: $vgpr3_vgpr4
.LBB7_212:
	s_mov_b64 s[8:9], 0
.LBB7_213:
	s_and_b64 vcc, exec, s[8:9]
	s_cbranch_vccz .LBB7_217
; %bb.214:
	s_cmp_eq_u32 s12, 11
	s_cbranch_scc0 .LBB7_216
; %bb.215:
	global_load_ubyte v4, v[0:1], off
	v_mov_b32_e32 v5, 0x3ff00000
	v_mov_b32_e32 v3, 0
	s_mov_b64 s[0:1], -1
	s_mov_b64 s[2:3], 0
	s_waitcnt vmcnt(0)
	v_cmp_ne_u16_e32 vcc, 0, v4
	v_cndmask_b32_e32 v4, 0, v5, vcc
	s_branch .LBB7_217
.LBB7_216:
	s_mov_b64 s[2:3], -1
                                        ; implicit-def: $vgpr3_vgpr4
.LBB7_217:
	s_branch .LBB7_24
.LBB7_218:
	s_cmp_lt_i32 s12, 5
	s_cbranch_scc1 .LBB7_223
; %bb.219:
	s_cmp_lt_i32 s12, 8
	s_cbranch_scc1 .LBB7_224
; %bb.220:
	;; [unrolled: 3-line block ×3, first 2 shown]
	s_cmp_gt_i32 s12, 9
	s_cbranch_scc0 .LBB7_226
; %bb.222:
	global_load_dwordx2 v[3:4], v[0:1], off
	s_mov_b64 s[0:1], 0
	s_branch .LBB7_227
.LBB7_223:
                                        ; implicit-def: $vgpr3_vgpr4
	s_branch .LBB7_245
.LBB7_224:
	s_mov_b64 s[0:1], -1
                                        ; implicit-def: $vgpr3_vgpr4
	s_branch .LBB7_233
.LBB7_225:
	s_mov_b64 s[0:1], -1
                                        ; implicit-def: $vgpr3_vgpr4
	s_branch .LBB7_230
.LBB7_226:
	s_mov_b64 s[0:1], -1
                                        ; implicit-def: $vgpr3_vgpr4
.LBB7_227:
	s_andn2_b64 vcc, exec, s[0:1]
	s_cbranch_vccnz .LBB7_229
; %bb.228:
	global_load_dword v3, v[0:1], off
	s_waitcnt vmcnt(0)
	v_cvt_f64_f32_e32 v[3:4], v3
.LBB7_229:
	s_mov_b64 s[0:1], 0
.LBB7_230:
	s_andn2_b64 vcc, exec, s[0:1]
	s_cbranch_vccnz .LBB7_232
; %bb.231:
	global_load_dword v3, v[0:1], off
	s_waitcnt vmcnt(0)
	v_cvt_f32_f16_e32 v3, v3
	v_cvt_f64_f32_e32 v[3:4], v3
.LBB7_232:
	s_mov_b64 s[0:1], 0
.LBB7_233:
	s_andn2_b64 vcc, exec, s[0:1]
	s_cbranch_vccnz .LBB7_244
; %bb.234:
	s_cmp_lt_i32 s12, 6
	s_cbranch_scc1 .LBB7_237
; %bb.235:
	s_cmp_gt_i32 s12, 6
	s_cbranch_scc0 .LBB7_238
; %bb.236:
	global_load_dwordx2 v[3:4], v[0:1], off
	s_mov_b64 s[0:1], 0
	s_branch .LBB7_239
.LBB7_237:
	s_mov_b64 s[0:1], -1
                                        ; implicit-def: $vgpr3_vgpr4
	s_branch .LBB7_242
.LBB7_238:
	s_mov_b64 s[0:1], -1
                                        ; implicit-def: $vgpr3_vgpr4
.LBB7_239:
	s_andn2_b64 vcc, exec, s[0:1]
	s_cbranch_vccnz .LBB7_241
; %bb.240:
	global_load_dword v3, v[0:1], off
	s_waitcnt vmcnt(0)
	v_cvt_f64_f32_e32 v[3:4], v3
.LBB7_241:
	s_mov_b64 s[0:1], 0
.LBB7_242:
	s_andn2_b64 vcc, exec, s[0:1]
	s_cbranch_vccnz .LBB7_244
; %bb.243:
	global_load_ushort v3, v[0:1], off
	s_waitcnt vmcnt(0)
	v_cvt_f32_f16_e32 v3, v3
	v_cvt_f64_f32_e32 v[3:4], v3
.LBB7_244:
	s_cbranch_execnz .LBB7_264
.LBB7_245:
	s_cmp_lt_i32 s12, 2
	s_cbranch_scc1 .LBB7_249
; %bb.246:
	s_cmp_lt_i32 s12, 3
	s_cbranch_scc1 .LBB7_250
; %bb.247:
	s_cmp_gt_i32 s12, 3
	s_cbranch_scc0 .LBB7_251
; %bb.248:
	global_load_dwordx2 v[3:4], v[0:1], off
	s_mov_b64 s[0:1], 0
	s_waitcnt vmcnt(0)
	v_cvt_f64_i32_e32 v[4:5], v4
	v_cvt_f64_u32_e32 v[6:7], v3
	v_ldexp_f64 v[4:5], v[4:5], 32
	v_add_f64 v[3:4], v[4:5], v[6:7]
	s_branch .LBB7_252
.LBB7_249:
	s_mov_b64 s[0:1], -1
                                        ; implicit-def: $vgpr3_vgpr4
	s_branch .LBB7_258
.LBB7_250:
	s_mov_b64 s[0:1], -1
                                        ; implicit-def: $vgpr3_vgpr4
	s_branch .LBB7_255
.LBB7_251:
	s_mov_b64 s[0:1], -1
                                        ; implicit-def: $vgpr3_vgpr4
.LBB7_252:
	s_andn2_b64 vcc, exec, s[0:1]
	s_cbranch_vccnz .LBB7_254
; %bb.253:
	global_load_dword v3, v[0:1], off
	s_waitcnt vmcnt(0)
	v_cvt_f64_i32_e32 v[3:4], v3
.LBB7_254:
	s_mov_b64 s[0:1], 0
.LBB7_255:
	s_andn2_b64 vcc, exec, s[0:1]
	s_cbranch_vccnz .LBB7_257
; %bb.256:
	global_load_sshort v3, v[0:1], off
	s_waitcnt vmcnt(0)
	v_cvt_f64_i32_e32 v[3:4], v3
.LBB7_257:
	s_mov_b64 s[0:1], 0
.LBB7_258:
	s_andn2_b64 vcc, exec, s[0:1]
	s_cbranch_vccnz .LBB7_264
; %bb.259:
	s_cmp_gt_i32 s12, 0
	s_cbranch_scc0 .LBB7_261
; %bb.260:
	global_load_sbyte v3, v[0:1], off
	s_mov_b64 s[0:1], 0
	s_waitcnt vmcnt(0)
	v_cvt_f64_i32_e32 v[3:4], v3
	s_branch .LBB7_262
.LBB7_261:
	s_mov_b64 s[0:1], -1
                                        ; implicit-def: $vgpr3_vgpr4
.LBB7_262:
	s_andn2_b64 vcc, exec, s[0:1]
	s_cbranch_vccnz .LBB7_264
; %bb.263:
	global_load_ubyte v0, v[0:1], off
	s_waitcnt vmcnt(0)
	v_cvt_f64_u32_e32 v[3:4], v0
.LBB7_264:
	s_branch .LBB7_25
.LBB7_265:
	s_mov_b64 s[0:1], 0
.LBB7_266:
	s_mov_b64 s[8:9], 0
                                        ; implicit-def: $vgpr10
.LBB7_267:
	s_and_b64 s[54:55], s[0:1], exec
	s_and_b64 s[56:57], s[2:3], exec
	s_orn2_b64 s[2:3], s[8:9], exec
.LBB7_268:
	s_or_b64 exec, exec, s[58:59]
	s_mov_b64 s[10:11], 0
	s_mov_b64 s[0:1], 0
                                        ; implicit-def: $vgpr0_vgpr1
                                        ; implicit-def: $vgpr2
                                        ; implicit-def: $vgpr6_vgpr7
	s_and_saveexec_b64 s[58:59], s[2:3]
	s_cbranch_execz .LBB7_275
; %bb.269:
	v_cmp_gt_i32_e32 vcc, s72, v10
	s_mov_b64 s[0:1], -1
	s_mov_b64 s[60:61], s[56:57]
	s_mov_b64 s[62:63], s[54:55]
	s_and_saveexec_b64 s[64:65], vcc
	s_cbranch_execz .LBB7_546
; %bb.270:
	s_andn2_b64 vcc, exec, s[40:41]
	s_cbranch_vccnz .LBB7_278
; %bb.271:
	s_andn2_b64 vcc, exec, s[52:53]
	s_cbranch_vccnz .LBB7_279
; %bb.272:
	s_add_i32 s67, s77, 1
	s_cmp_eq_u32 s74, 2
	s_cbranch_scc1 .LBB7_280
; %bb.273:
	s_and_b32 s66, s67, 28
	v_mov_b32_e32 v0, 0
	s_mov_b32 s68, 0
	s_mov_b64 s[60:61], s[34:35]
	s_mov_b64 s[62:63], s[50:51]
	v_mov_b32_e32 v2, 0
	v_mov_b32_e32 v1, v10
.LBB7_274:                              ; =>This Inner Loop Header: Depth=1
	s_load_dwordx8 s[16:23], s[60:61], 0x4
	s_load_dwordx4 s[0:3], s[60:61], 0x24
	s_load_dwordx8 s[8:15], s[62:63], 0x0
	s_add_u32 s60, s60, 48
	s_addc_u32 s61, s61, 0
	s_waitcnt vmcnt(0) lgkmcnt(0)
	v_mul_hi_u32 v3, s17, v1
	s_add_i32 s68, s68, 4
	s_add_u32 s62, s62, 32
	s_addc_u32 s63, s63, 0
	v_add_u32_e32 v3, v1, v3
	v_lshrrev_b32_e32 v3, s18, v3
	v_mul_lo_u32 v4, v3, s16
	v_mul_hi_u32 v5, s20, v3
	s_cmp_eq_u32 s66, s68
	v_sub_u32_e32 v1, v1, v4
	v_add_u32_e32 v4, v3, v5
	v_mul_lo_u32 v5, v1, s8
	v_mul_lo_u32 v6, v1, s9
	v_lshrrev_b32_e32 v1, s21, v4
	v_mul_lo_u32 v4, v1, s19
	v_mul_hi_u32 v7, s23, v1
	v_sub_u32_e32 v3, v3, v4
	v_add_u32_e32 v4, v1, v7
	v_lshrrev_b32_e32 v4, s0, v4
	v_mul_hi_u32 v8, s2, v4
	v_mul_lo_u32 v9, v4, s22
	v_mul_lo_u32 v7, v3, s10
	;; [unrolled: 1-line block ×3, first 2 shown]
	v_sub_u32_e32 v9, v1, v9
	v_add_u32_e32 v1, v4, v8
	v_lshrrev_b32_e32 v1, s3, v1
	v_mul_lo_u32 v8, v1, s1
	v_mul_lo_u32 v11, v9, s12
	;; [unrolled: 1-line block ×3, first 2 shown]
	v_add3_u32 v2, v5, v2, v7
	v_sub_u32_e32 v4, v4, v8
	v_mul_lo_u32 v8, v4, s14
	v_mul_lo_u32 v4, v4, s15
	v_add3_u32 v0, v6, v0, v3
	v_add3_u32 v2, v11, v2, v8
	;; [unrolled: 1-line block ×3, first 2 shown]
	s_cbranch_scc0 .LBB7_274
	s_branch .LBB7_281
.LBB7_275:
	s_or_b64 exec, exec, s[58:59]
	s_mov_b64 s[2:3], 0
	s_and_saveexec_b64 s[8:9], s[56:57]
	s_cbranch_execnz .LBB7_924
.LBB7_276:
	s_or_b64 exec, exec, s[8:9]
	s_and_saveexec_b64 s[8:9], s[62:63]
	s_xor_b64 s[8:9], exec, s[8:9]
	s_cbranch_execz .LBB7_925
.LBB7_277:
	global_load_ubyte v3, v[0:1], off
	s_waitcnt vmcnt(1)
	v_mov_b32_e32 v4, 0x3ff00000
	v_mov_b32_e32 v6, 0
	s_or_b64 s[0:1], s[0:1], exec
	s_waitcnt vmcnt(0)
	v_cmp_ne_u16_e32 vcc, 0, v3
	v_cndmask_b32_e32 v7, 0, v4, vcc
	s_or_b64 exec, exec, s[8:9]
	s_and_saveexec_b64 s[8:9], s[10:11]
	s_cbranch_execz .LBB7_971
	s_branch .LBB7_926
.LBB7_278:
                                        ; implicit-def: $vgpr2
                                        ; implicit-def: $vgpr0
	s_andn2_b64 vcc, exec, s[0:1]
	s_cbranch_vccz .LBB7_285
	s_branch .LBB7_287
.LBB7_279:
	v_mov_b32_e32 v2, 0
	v_mov_b32_e32 v0, 0
	s_branch .LBB7_284
.LBB7_280:
	s_mov_b32 s66, 0
	v_mov_b32_e32 v2, 0
	v_mov_b32_e32 v0, 0
	;; [unrolled: 1-line block ×3, first 2 shown]
.LBB7_281:
	s_and_b32 s8, s67, 3
	s_cmp_eq_u32 s8, 0
	s_cbranch_scc1 .LBB7_284
; %bb.282:
	s_lshl_b32 s0, s66, 3
	s_add_u32 s0, s34, s0
	s_addc_u32 s1, s35, 0
	s_add_u32 s0, s0, 0xc4
	s_addc_u32 s1, s1, 0
	s_mul_i32 s2, s66, 12
	s_add_u32 s2, s34, s2
	s_addc_u32 s3, s35, 0
.LBB7_283:                              ; =>This Inner Loop Header: Depth=1
	s_load_dwordx2 s[10:11], s[2:3], 0x4
	s_load_dword s9, s[2:3], 0xc
	s_load_dwordx2 s[12:13], s[0:1], 0x0
	s_add_u32 s2, s2, 12
	s_addc_u32 s3, s3, 0
	s_waitcnt vmcnt(0) lgkmcnt(0)
	v_mul_hi_u32 v3, s11, v1
	s_add_u32 s0, s0, 8
	s_addc_u32 s1, s1, 0
	s_add_i32 s8, s8, -1
	v_add_u32_e32 v3, v1, v3
	v_lshrrev_b32_e32 v4, s9, v3
	v_mul_lo_u32 v3, v4, s10
	s_cmp_lg_u32 s8, 0
	v_sub_u32_e32 v1, v1, v3
	v_mad_u64_u32 v[2:3], s[10:11], v1, s12, v[2:3]
	v_mad_u64_u32 v[0:1], s[10:11], v1, s13, v[0:1]
	v_mov_b32_e32 v1, v4
	s_cbranch_scc1 .LBB7_283
.LBB7_284:
	s_cbranch_execnz .LBB7_287
.LBB7_285:
	v_mul_hi_u32 v0, s29, v10
	s_andn2_b64 vcc, exec, s[48:49]
	v_add_u32_e32 v0, v10, v0
	v_lshrrev_b32_e32 v1, s30, v0
	v_mul_lo_u32 v0, v1, s28
	v_sub_u32_e32 v0, v10, v0
	v_mul_lo_u32 v2, v0, s36
	v_mul_lo_u32 v0, v0, s37
	s_cbranch_vccnz .LBB7_287
; %bb.286:
	s_waitcnt vmcnt(0)
	v_mul_hi_u32 v3, s46, v1
	v_add_u32_e32 v3, v1, v3
	v_lshrrev_b32_e32 v3, s47, v3
	v_mul_lo_u32 v3, v3, s31
	v_sub_u32_e32 v1, v1, v3
	v_mad_u64_u32 v[2:3], s[0:1], v1, s38, v[2:3]
	v_mad_u64_u32 v[0:1], s[0:1], v1, s39, v[0:1]
.LBB7_287:
	v_mov_b32_e32 v1, s27
	s_and_b32 s12, 0xffff, s76
	v_add_co_u32_e32 v0, vcc, s26, v0
	s_cmp_lt_i32 s12, 11
	v_addc_co_u32_e32 v1, vcc, 0, v1, vcc
	s_cbranch_scc1 .LBB7_294
; %bb.288:
	s_cmp_gt_i32 s12, 25
	s_cbranch_scc0 .LBB7_305
; %bb.289:
	s_cmp_gt_i32 s12, 28
	s_cbranch_scc0 .LBB7_307
	;; [unrolled: 3-line block ×4, first 2 shown]
; %bb.292:
	s_cmp_eq_u32 s12, 46
	s_mov_b64 s[8:9], 0
	s_cbranch_scc0 .LBB7_317
; %bb.293:
	global_load_dword v3, v[0:1], off
	s_mov_b64 s[0:1], -1
	s_mov_b64 s[2:3], 0
	s_waitcnt vmcnt(0)
	v_lshlrev_b32_e32 v3, 16, v3
	v_cvt_f64_f32_e32 v[3:4], v3
	s_branch .LBB7_318
.LBB7_294:
	s_mov_b64 s[0:1], 0
                                        ; implicit-def: $vgpr3_vgpr4
	s_mov_b64 s[2:3], s[56:57]
	s_cbranch_execnz .LBB7_495
.LBB7_295:
	s_andn2_b64 vcc, exec, s[0:1]
	s_cbranch_vccnz .LBB7_543
.LBB7_296:
	s_waitcnt vmcnt(0)
	v_cmp_lt_f64_e32 vcc, s[44:45], v[3:4]
	v_mov_b32_e32 v0, 0
	v_mov_b32_e32 v1, 0x3ff00000
	s_and_saveexec_b64 s[0:1], vcc
	s_cbranch_execz .LBB7_298
; %bb.297:
	s_mov_b32 s8, 0x9abcaf48
	s_mov_b32 s9, 0x3e7ad7f2
	v_add_f64 v[0:1], v[3:4], s[8:9]
	v_div_scale_f64 v[3:4], s[8:9], v[0:1], v[0:1], s[44:45]
	v_div_scale_f64 v[11:12], vcc, s[44:45], v[0:1], s[44:45]
	v_rcp_f64_e32 v[5:6], v[3:4]
	v_fma_f64 v[7:8], -v[3:4], v[5:6], 1.0
	v_fma_f64 v[5:6], v[5:6], v[7:8], v[5:6]
	v_fma_f64 v[7:8], -v[3:4], v[5:6], 1.0
	v_fma_f64 v[5:6], v[5:6], v[7:8], v[5:6]
	v_mul_f64 v[7:8], v[11:12], v[5:6]
	v_fma_f64 v[3:4], -v[3:4], v[7:8], v[11:12]
	v_div_fmas_f64 v[3:4], v[3:4], v[5:6], v[7:8]
	v_div_fixup_f64 v[0:1], v[3:4], v[0:1], s[44:45]
.LBB7_298:
	s_or_b64 exec, exec, s[0:1]
	v_mov_b32_e32 v3, s25
	s_and_b32 s14, s75, 0xff
	v_add_co_u32_e32 v4, vcc, s24, v2
	s_cmp_lt_i32 s14, 11
	v_addc_co_u32_e32 v5, vcc, 0, v3, vcc
	s_cbranch_scc1 .LBB7_306
; %bb.299:
	s_and_b32 s15, 0xffff, s14
	s_cmp_gt_i32 s15, 25
	s_cbranch_scc0 .LBB7_308
; %bb.300:
	s_cmp_gt_i32 s15, 28
	s_cbranch_scc0 .LBB7_310
; %bb.301:
	;; [unrolled: 3-line block ×4, first 2 shown]
	s_mov_b64 s[10:11], 0
	s_mov_b64 s[0:1], -1
	s_cmp_eq_u32 s15, 46
	s_mov_b64 s[8:9], 0
	s_cbranch_scc0 .LBB7_322
; %bb.304:
	v_cvt_f32_f64_e32 v2, v[0:1]
	s_movk_i32 s0, 0x7fff
	v_mov_b32_e32 v3, 0x7fc0
	s_mov_b64 s[8:9], -1
	v_bfe_u32 v6, v2, 16, 1
	v_cmp_o_f32_e32 vcc, v2, v2
	v_add3_u32 v2, v2, v6, s0
	v_cndmask_b32_sdwa v2, v3, v2, vcc dst_sel:DWORD dst_unused:UNUSED_PAD src0_sel:DWORD src1_sel:WORD_1
	global_store_dword v[4:5], v2, off
	s_mov_b64 s[0:1], 0
	s_branch .LBB7_322
.LBB7_305:
	s_mov_b64 s[8:9], -1
	s_mov_b64 s[0:1], 0
	s_mov_b64 s[2:3], s[56:57]
                                        ; implicit-def: $vgpr3_vgpr4
	s_branch .LBB7_461
.LBB7_306:
	s_mov_b64 s[10:11], -1
	s_mov_b64 s[8:9], 0
	s_mov_b64 s[0:1], s[54:55]
	s_branch .LBB7_391
.LBB7_307:
	s_mov_b64 s[8:9], -1
	s_mov_b64 s[0:1], 0
	s_mov_b64 s[2:3], s[56:57]
                                        ; implicit-def: $vgpr3_vgpr4
	s_branch .LBB7_440
.LBB7_308:
	s_mov_b64 s[10:11], -1
	s_mov_b64 s[8:9], 0
	s_mov_b64 s[0:1], s[54:55]
	s_branch .LBB7_349
.LBB7_309:
	s_mov_b64 s[8:9], -1
	s_mov_b64 s[0:1], 0
	s_mov_b64 s[2:3], s[56:57]
                                        ; implicit-def: $vgpr3_vgpr4
	s_branch .LBB7_435
.LBB7_310:
	s_mov_b64 s[10:11], -1
	s_mov_b64 s[8:9], 0
	s_mov_b64 s[0:1], s[54:55]
	s_branch .LBB7_332
.LBB7_311:
	s_andn2_saveexec_b64 s[12:13], s[12:13]
	s_cbranch_execz .LBB7_70
.LBB7_312:
	s_mov_b32 s16, 0x46000000
	v_add_f32_e64 v3, |v2|, s16
	v_and_b32_e32 v3, 0xff, v3
	v_cmp_ne_u32_e32 vcc, 0, v3
	s_andn2_b64 s[10:11], s[10:11], exec
	s_and_b64 s[16:17], vcc, exec
	s_or_b64 s[10:11], s[10:11], s[16:17]
	s_or_b64 exec, exec, s[12:13]
	v_mov_b32_e32 v6, 0
	s_and_saveexec_b64 s[12:13], s[10:11]
	s_cbranch_execnz .LBB7_71
	s_branch .LBB7_72
.LBB7_313:
	s_mov_b64 s[8:9], -1
	s_mov_b64 s[0:1], 0
	s_mov_b64 s[2:3], s[56:57]
                                        ; implicit-def: $vgpr3_vgpr4
	s_branch .LBB7_318
.LBB7_314:
	s_mov_b64 s[10:11], -1
	s_mov_b64 s[8:9], 0
	s_mov_b64 s[0:1], s[54:55]
	s_branch .LBB7_328
.LBB7_315:
	s_andn2_saveexec_b64 s[12:13], s[12:13]
	s_cbranch_execz .LBB7_83
.LBB7_316:
	s_mov_b32 s16, 0x42800000
	v_add_f32_e64 v3, |v2|, s16
	v_and_b32_e32 v3, 0xff, v3
	v_cmp_ne_u32_e32 vcc, 0, v3
	s_andn2_b64 s[10:11], s[10:11], exec
	s_and_b64 s[16:17], vcc, exec
	s_or_b64 s[10:11], s[10:11], s[16:17]
	s_or_b64 exec, exec, s[12:13]
	v_mov_b32_e32 v6, 0
	s_and_saveexec_b64 s[12:13], s[10:11]
	s_cbranch_execnz .LBB7_84
	s_branch .LBB7_85
.LBB7_317:
	s_mov_b64 s[2:3], -1
                                        ; implicit-def: $vgpr3_vgpr4
	s_mov_b64 s[0:1], 0
.LBB7_318:
	s_and_b64 vcc, exec, s[8:9]
	s_cbranch_vccz .LBB7_434
; %bb.319:
	s_cmp_eq_u32 s12, 44
	s_cbranch_scc0 .LBB7_433
; %bb.320:
	global_load_ubyte v5, v[0:1], off
	s_movk_i32 s2, 0xff
	v_bfrev_b32_e32 v6, 4
	v_mov_b32_e32 v7, 0x7ff80000
	v_bfrev_b32_e32 v8, 28
	s_mov_b64 s[0:1], -1
	s_waitcnt vmcnt(0)
	v_lshlrev_b32_e32 v3, 23, v5
	v_cvt_f64_f32_e32 v[3:4], v3
	v_cmp_ne_u32_e32 vcc, s2, v5
	s_mov_b64 s[2:3], 0
	v_cndmask_b32_e32 v3, v6, v3, vcc
	v_cndmask_b32_e32 v4, v7, v4, vcc
	v_cmp_ne_u32_e32 vcc, 0, v5
	v_cndmask_b32_e32 v4, v8, v4, vcc
	v_cndmask_b32_e32 v3, 0, v3, vcc
	s_branch .LBB7_434
.LBB7_321:
	s_mov_b64 s[10:11], -1
	s_mov_b64 s[8:9], 0
	s_mov_b64 s[0:1], s[54:55]
.LBB7_322:
	s_and_b64 vcc, exec, s[10:11]
	s_cbranch_vccz .LBB7_327
; %bb.323:
	s_cmp_eq_u32 s15, 44
	s_mov_b64 s[0:1], -1
	s_cbranch_scc0 .LBB7_327
; %bb.324:
	v_cvt_f32_f64_e32 v2, v[0:1]
	s_movk_i32 s0, 0xff
	v_mov_b32_e32 v6, 0xff
	v_bfe_u32 v3, v2, 23, 8
	v_cmp_ne_u32_e32 vcc, s0, v3
	s_and_saveexec_b64 s[8:9], vcc
; %bb.325:
	s_mov_b32 s0, 0x3fffff
	v_lshrrev_b32_e32 v6, 23, v2
	v_and_b32_e32 v7, 0x400000, v2
	v_and_or_b32 v2, v2, s0, v3
	v_cmp_ne_u32_e32 vcc, 0, v7
	v_cmp_ne_u32_e64 s[0:1], 0, v2
	s_and_b64 s[0:1], vcc, s[0:1]
	v_cndmask_b32_e64 v2, 0, 1, s[0:1]
	v_add_u32_e32 v6, v6, v2
; %bb.326:
	s_or_b64 exec, exec, s[8:9]
	s_mov_b64 s[8:9], -1
	s_mov_b64 s[0:1], 0
	global_store_byte v[4:5], v6, off
.LBB7_327:
	s_mov_b64 s[10:11], 0
.LBB7_328:
	s_and_b64 vcc, exec, s[10:11]
	s_cbranch_vccz .LBB7_331
; %bb.329:
	s_cmp_eq_u32 s15, 29
	s_mov_b64 s[0:1], -1
	s_cbranch_scc0 .LBB7_331
; %bb.330:
	v_trunc_f64_e32 v[2:3], v[0:1]
	s_movk_i32 s0, 0xffe0
	s_mov_b64 s[8:9], -1
	s_mov_b64 s[10:11], 0
	v_ldexp_f64 v[6:7], v[2:3], s0
	s_mov_b32 s0, 0
	s_mov_b32 s1, 0xc1f00000
	v_floor_f64_e32 v[6:7], v[6:7]
	v_fma_f64 v[2:3], v[6:7], s[0:1], v[2:3]
	v_cvt_u32_f64_e32 v7, v[6:7]
	s_mov_b64 s[0:1], 0
	v_cvt_u32_f64_e32 v6, v[2:3]
	global_store_dwordx2 v[4:5], v[6:7], off
	s_branch .LBB7_332
.LBB7_331:
	s_mov_b64 s[10:11], 0
.LBB7_332:
	s_and_b64 vcc, exec, s[10:11]
	s_cbranch_vccz .LBB7_348
; %bb.333:
	s_cmp_lt_i32 s15, 27
	s_mov_b64 s[8:9], -1
	s_cbranch_scc1 .LBB7_339
; %bb.334:
	v_cvt_u32_f64_e32 v2, v[0:1]
	s_cmp_gt_i32 s15, 27
	s_cbranch_scc0 .LBB7_336
; %bb.335:
	s_mov_b64 s[8:9], 0
	global_store_dword v[4:5], v2, off
.LBB7_336:
	s_andn2_b64 vcc, exec, s[8:9]
	s_cbranch_vccnz .LBB7_338
; %bb.337:
	global_store_short v[4:5], v2, off
.LBB7_338:
	s_mov_b64 s[8:9], 0
.LBB7_339:
	s_andn2_b64 vcc, exec, s[8:9]
	s_cbranch_vccnz .LBB7_347
; %bb.340:
	v_cvt_f32_f64_e32 v2, v[0:1]
	s_mov_b32 s8, 0x43800000
	v_mov_b32_e32 v6, 0x80
	v_and_b32_e32 v3, 0x7fffffff, v2
	v_cmp_gt_u32_e32 vcc, s8, v3
	s_and_saveexec_b64 s[8:9], vcc
	s_cbranch_execz .LBB7_346
; %bb.341:
	s_mov_b32 s10, 0x3bffffff
	v_cmp_lt_u32_e32 vcc, s10, v3
	s_mov_b64 s[10:11], 0
                                        ; implicit-def: $vgpr3
	s_and_saveexec_b64 s[12:13], vcc
	s_xor_b64 s[12:13], exec, s[12:13]
	s_cbranch_execz .LBB7_574
; %bb.342:
	v_bfe_u32 v3, v2, 20, 1
	s_mov_b32 s16, 0x487ffff
	v_add3_u32 v3, v2, v3, s16
	s_mov_b64 s[10:11], exec
	v_lshrrev_b32_e32 v3, 20, v3
	s_andn2_saveexec_b64 s[12:13], s[12:13]
	s_cbranch_execnz .LBB7_575
.LBB7_343:
	s_or_b64 exec, exec, s[12:13]
	v_mov_b32_e32 v6, 0
	s_and_saveexec_b64 s[12:13], s[10:11]
.LBB7_344:
	v_lshrrev_b32_e32 v2, 24, v2
	s_movk_i32 s10, 0x80
	v_and_or_b32 v6, v2, s10, v3
.LBB7_345:
	s_or_b64 exec, exec, s[12:13]
.LBB7_346:
	s_or_b64 exec, exec, s[8:9]
	global_store_byte v[4:5], v6, off
.LBB7_347:
	s_mov_b64 s[8:9], -1
.LBB7_348:
	s_mov_b64 s[10:11], 0
.LBB7_349:
	s_and_b64 vcc, exec, s[10:11]
	s_cbranch_vccz .LBB7_390
; %bb.350:
	s_cmp_gt_i32 s15, 22
	s_mov_b64 s[10:11], -1
	s_cbranch_scc0 .LBB7_382
; %bb.351:
	s_cmp_lt_i32 s15, 24
	s_mov_b64 s[8:9], -1
	s_cbranch_scc1 .LBB7_371
; %bb.352:
	s_cmp_gt_i32 s15, 24
	s_cbranch_scc0 .LBB7_360
; %bb.353:
	v_cvt_f32_f64_e32 v2, v[0:1]
	s_mov_b32 s8, 0x47800000
	v_mov_b32_e32 v6, 0x80
	v_and_b32_e32 v3, 0x7fffffff, v2
	v_cmp_gt_u32_e32 vcc, s8, v3
	s_and_saveexec_b64 s[8:9], vcc
	s_cbranch_execz .LBB7_359
; %bb.354:
	s_mov_b32 s10, 0x37ffffff
	v_cmp_lt_u32_e32 vcc, s10, v3
	s_mov_b64 s[10:11], 0
                                        ; implicit-def: $vgpr3
	s_and_saveexec_b64 s[12:13], vcc
	s_xor_b64 s[12:13], exec, s[12:13]
	s_cbranch_execz .LBB7_577
; %bb.355:
	v_bfe_u32 v3, v2, 21, 1
	s_mov_b32 s16, 0x88fffff
	v_add3_u32 v3, v2, v3, s16
	s_mov_b64 s[10:11], exec
	v_lshrrev_b32_e32 v3, 21, v3
	s_andn2_saveexec_b64 s[12:13], s[12:13]
	s_cbranch_execnz .LBB7_578
.LBB7_356:
	s_or_b64 exec, exec, s[12:13]
	v_mov_b32_e32 v6, 0
	s_and_saveexec_b64 s[12:13], s[10:11]
.LBB7_357:
	v_lshrrev_b32_e32 v2, 24, v2
	s_movk_i32 s10, 0x80
	v_and_or_b32 v6, v2, s10, v3
.LBB7_358:
	s_or_b64 exec, exec, s[12:13]
.LBB7_359:
	s_or_b64 exec, exec, s[8:9]
	s_mov_b64 s[8:9], 0
	global_store_byte v[4:5], v6, off
.LBB7_360:
	s_and_b64 vcc, exec, s[8:9]
	s_cbranch_vccz .LBB7_370
; %bb.361:
	v_cvt_f32_f64_e32 v2, v[0:1]
	s_mov_b32 s8, 0x43f00000
                                        ; implicit-def: $vgpr3
	v_and_b32_e32 v6, 0x7fffffff, v2
	v_cmp_gt_u32_e32 vcc, s8, v6
	s_and_saveexec_b64 s[8:9], vcc
	s_xor_b64 s[8:9], exec, s[8:9]
	s_cbranch_execz .LBB7_367
; %bb.362:
	s_mov_b32 s10, 0x3c7fffff
	v_cmp_lt_u32_e32 vcc, s10, v6
                                        ; implicit-def: $vgpr3
	s_and_saveexec_b64 s[10:11], vcc
	s_xor_b64 s[10:11], exec, s[10:11]
; %bb.363:
	v_bfe_u32 v3, v2, 20, 1
	s_mov_b32 s12, 0x407ffff
	v_add3_u32 v3, v2, v3, s12
	v_lshrrev_b32_e32 v6, 20, v3
	v_and_b32_e32 v3, 0xff00000, v3
	s_mov_b32 s12, 0x7f00000
	v_mov_b32_e32 v7, 0x7e
	v_cmp_ne_u32_e32 vcc, s12, v3
	v_cndmask_b32_e32 v3, v7, v6, vcc
; %bb.364:
	s_andn2_saveexec_b64 s[10:11], s[10:11]
; %bb.365:
	s_mov_b32 s12, 0x46800000
	v_add_f32_e64 v3, |v2|, s12
; %bb.366:
	s_or_b64 exec, exec, s[10:11]
                                        ; implicit-def: $vgpr6
.LBB7_367:
	s_andn2_saveexec_b64 s[8:9], s[8:9]
; %bb.368:
	s_mov_b32 s10, 0x7f800000
	v_mov_b32_e32 v3, 0x7e
	v_mov_b32_e32 v7, 0x7f
	v_cmp_lt_u32_e32 vcc, s10, v6
	v_cndmask_b32_e32 v3, v3, v7, vcc
; %bb.369:
	s_or_b64 exec, exec, s[8:9]
	v_lshrrev_b32_e32 v2, 24, v2
	s_movk_i32 s8, 0x80
	v_and_or_b32 v2, v2, s8, v3
	global_store_byte v[4:5], v2, off
.LBB7_370:
	s_mov_b64 s[8:9], 0
.LBB7_371:
	s_andn2_b64 vcc, exec, s[8:9]
	s_cbranch_vccnz .LBB7_381
; %bb.372:
	v_cvt_f32_f64_e32 v2, v[0:1]
	s_mov_b32 s8, 0x47800000
                                        ; implicit-def: $vgpr3
	v_and_b32_e32 v6, 0x7fffffff, v2
	v_cmp_gt_u32_e32 vcc, s8, v6
	s_and_saveexec_b64 s[8:9], vcc
	s_xor_b64 s[8:9], exec, s[8:9]
	s_cbranch_execz .LBB7_378
; %bb.373:
	s_mov_b32 s10, 0x387fffff
	v_cmp_lt_u32_e32 vcc, s10, v6
                                        ; implicit-def: $vgpr3
	s_and_saveexec_b64 s[10:11], vcc
	s_xor_b64 s[10:11], exec, s[10:11]
; %bb.374:
	v_bfe_u32 v3, v2, 21, 1
	s_mov_b32 s12, 0x80fffff
	v_add3_u32 v3, v2, v3, s12
	v_lshrrev_b32_e32 v3, 21, v3
; %bb.375:
	s_andn2_saveexec_b64 s[10:11], s[10:11]
; %bb.376:
	s_mov_b32 s12, 0x43000000
	v_add_f32_e64 v3, |v2|, s12
; %bb.377:
	s_or_b64 exec, exec, s[10:11]
                                        ; implicit-def: $vgpr6
.LBB7_378:
	s_andn2_saveexec_b64 s[8:9], s[8:9]
; %bb.379:
	s_mov_b32 s10, 0x7f800000
	v_mov_b32_e32 v3, 0x7c
	v_mov_b32_e32 v7, 0x7f
	v_cmp_lt_u32_e32 vcc, s10, v6
	v_cndmask_b32_e32 v3, v3, v7, vcc
; %bb.380:
	s_or_b64 exec, exec, s[8:9]
	v_lshrrev_b32_e32 v2, 24, v2
	s_movk_i32 s8, 0x80
	v_and_or_b32 v2, v2, s8, v3
	global_store_byte v[4:5], v2, off
.LBB7_381:
	s_mov_b64 s[10:11], 0
	s_mov_b64 s[8:9], -1
.LBB7_382:
	s_andn2_b64 vcc, exec, s[10:11]
	s_cbranch_vccnz .LBB7_390
; %bb.383:
	s_cmp_gt_i32 s15, 14
	s_mov_b64 s[10:11], -1
	s_cbranch_scc0 .LBB7_387
; %bb.384:
	s_cmp_eq_u32 s15, 15
	s_mov_b64 s[0:1], -1
	s_cbranch_scc0 .LBB7_386
; %bb.385:
	v_cvt_f32_f64_e32 v2, v[0:1]
	s_movk_i32 s0, 0x7fff
	v_mov_b32_e32 v3, 0x7fc0
	s_mov_b64 s[8:9], -1
	v_bfe_u32 v6, v2, 16, 1
	v_cmp_o_f32_e32 vcc, v2, v2
	v_add3_u32 v2, v2, v6, s0
	v_cndmask_b32_sdwa v2, v3, v2, vcc dst_sel:DWORD dst_unused:UNUSED_PAD src0_sel:DWORD src1_sel:WORD_1
	global_store_short v[4:5], v2, off
	s_mov_b64 s[0:1], 0
.LBB7_386:
	s_mov_b64 s[10:11], 0
.LBB7_387:
	s_and_b64 vcc, exec, s[10:11]
	s_cbranch_vccz .LBB7_390
; %bb.388:
	s_cmp_eq_u32 s15, 11
	s_mov_b64 s[0:1], -1
	s_cbranch_scc0 .LBB7_390
; %bb.389:
	v_cmp_neq_f64_e32 vcc, 0, v[0:1]
	s_mov_b64 s[0:1], 0
	s_mov_b64 s[8:9], -1
	v_cndmask_b32_e64 v2, 0, 1, vcc
	global_store_byte v[4:5], v2, off
.LBB7_390:
	s_mov_b64 s[10:11], 0
.LBB7_391:
	s_and_b64 vcc, exec, s[10:11]
	s_cbranch_vccz .LBB7_430
; %bb.392:
	s_and_b32 s10, 0xffff, s14
	s_cmp_lt_i32 s10, 5
	s_mov_b64 s[8:9], -1
	s_cbranch_scc1 .LBB7_413
; %bb.393:
	s_cmp_lt_i32 s10, 8
	s_cbranch_scc1 .LBB7_403
; %bb.394:
	s_cmp_lt_i32 s10, 9
	s_cbranch_scc1 .LBB7_400
; %bb.395:
	s_cmp_gt_i32 s10, 9
	s_cbranch_scc0 .LBB7_397
; %bb.396:
	v_mov_b32_e32 v2, 0
	v_mov_b32_e32 v3, v2
	s_mov_b64 s[8:9], 0
	global_store_dwordx4 v[4:5], v[0:3], off
.LBB7_397:
	s_andn2_b64 vcc, exec, s[8:9]
	s_cbranch_vccnz .LBB7_399
; %bb.398:
	v_cvt_f32_f64_e32 v2, v[0:1]
	v_mov_b32_e32 v3, 0
	global_store_dwordx2 v[4:5], v[2:3], off
.LBB7_399:
	s_mov_b64 s[8:9], 0
.LBB7_400:
	s_andn2_b64 vcc, exec, s[8:9]
	s_cbranch_vccnz .LBB7_402
; %bb.401:
	s_movk_i32 s8, 0x1ff
	v_and_or_b32 v2, v1, s8, v0
	v_cmp_ne_u32_e32 vcc, 0, v2
	v_cndmask_b32_e64 v2, 0, 1, vcc
	v_lshrrev_b32_e32 v3, 8, v1
	s_movk_i32 s8, 0xffe
	v_bfe_u32 v6, v1, 20, 11
	v_and_or_b32 v2, v3, s8, v2
	v_sub_u32_e32 v7, 0x3f1, v6
	v_or_b32_e32 v3, 0x1000, v2
	v_med3_i32 v7, v7, 0, 13
	v_lshrrev_b32_e32 v8, v7, v3
	v_lshlrev_b32_e32 v7, v7, v8
	v_cmp_ne_u32_e32 vcc, v7, v3
	v_cndmask_b32_e64 v3, 0, 1, vcc
	v_add_u32_e32 v6, 0xfffffc10, v6
	v_or_b32_e32 v3, v8, v3
	v_lshl_or_b32 v7, v6, 12, v2
	v_cmp_gt_i32_e32 vcc, 1, v6
	v_cndmask_b32_e32 v3, v7, v3, vcc
	v_and_b32_e32 v7, 7, v3
	v_cmp_lt_i32_e32 vcc, 5, v7
	v_cndmask_b32_e64 v8, 0, 1, vcc
	v_cmp_eq_u32_e32 vcc, 3, v7
	v_cndmask_b32_e64 v7, 0, 1, vcc
	v_or_b32_e32 v7, v7, v8
	v_lshrrev_b32_e32 v3, 2, v3
	v_add_u32_e32 v3, v3, v7
	v_mov_b32_e32 v7, 0x7c00
	v_cmp_gt_i32_e32 vcc, 31, v6
	v_cndmask_b32_e32 v3, v7, v3, vcc
	v_mov_b32_e32 v8, 0x7e00
	v_cmp_ne_u32_e32 vcc, 0, v2
	s_movk_i32 s8, 0x40f
	v_cndmask_b32_e32 v2, v7, v8, vcc
	v_cmp_eq_u32_e32 vcc, s8, v6
	v_cndmask_b32_e32 v2, v3, v2, vcc
	v_lshrrev_b32_e32 v3, 16, v1
	s_mov_b32 s8, 0x8000
	v_and_or_b32 v2, v3, s8, v2
	v_and_b32_e32 v2, 0xffff, v2
	global_store_dword v[4:5], v2, off
.LBB7_402:
	s_mov_b64 s[8:9], 0
.LBB7_403:
	s_andn2_b64 vcc, exec, s[8:9]
	s_cbranch_vccnz .LBB7_412
; %bb.404:
	s_cmp_lt_i32 s10, 6
	s_mov_b64 s[8:9], -1
	s_cbranch_scc1 .LBB7_410
; %bb.405:
	s_cmp_gt_i32 s10, 6
	s_cbranch_scc0 .LBB7_407
; %bb.406:
	s_mov_b64 s[8:9], 0
	global_store_dwordx2 v[4:5], v[0:1], off
.LBB7_407:
	s_andn2_b64 vcc, exec, s[8:9]
	s_cbranch_vccnz .LBB7_409
; %bb.408:
	v_cvt_f32_f64_e32 v2, v[0:1]
	global_store_dword v[4:5], v2, off
.LBB7_409:
	s_mov_b64 s[8:9], 0
.LBB7_410:
	s_andn2_b64 vcc, exec, s[8:9]
	s_cbranch_vccnz .LBB7_412
; %bb.411:
	s_movk_i32 s8, 0x1ff
	v_and_or_b32 v2, v1, s8, v0
	v_cmp_ne_u32_e32 vcc, 0, v2
	v_cndmask_b32_e64 v2, 0, 1, vcc
	v_lshrrev_b32_e32 v3, 8, v1
	s_movk_i32 s8, 0xffe
	v_bfe_u32 v6, v1, 20, 11
	v_and_or_b32 v2, v3, s8, v2
	v_sub_u32_e32 v7, 0x3f1, v6
	v_or_b32_e32 v3, 0x1000, v2
	v_med3_i32 v7, v7, 0, 13
	v_lshrrev_b32_e32 v8, v7, v3
	v_lshlrev_b32_e32 v7, v7, v8
	v_cmp_ne_u32_e32 vcc, v7, v3
	v_cndmask_b32_e64 v3, 0, 1, vcc
	v_add_u32_e32 v6, 0xfffffc10, v6
	v_or_b32_e32 v3, v8, v3
	v_lshl_or_b32 v7, v6, 12, v2
	v_cmp_gt_i32_e32 vcc, 1, v6
	v_cndmask_b32_e32 v3, v7, v3, vcc
	v_and_b32_e32 v7, 7, v3
	v_cmp_lt_i32_e32 vcc, 5, v7
	v_cndmask_b32_e64 v8, 0, 1, vcc
	v_cmp_eq_u32_e32 vcc, 3, v7
	v_cndmask_b32_e64 v7, 0, 1, vcc
	v_or_b32_e32 v7, v7, v8
	v_lshrrev_b32_e32 v3, 2, v3
	v_add_u32_e32 v3, v3, v7
	v_mov_b32_e32 v7, 0x7c00
	v_cmp_gt_i32_e32 vcc, 31, v6
	v_cndmask_b32_e32 v3, v7, v3, vcc
	v_mov_b32_e32 v8, 0x7e00
	v_cmp_ne_u32_e32 vcc, 0, v2
	s_movk_i32 s8, 0x40f
	v_cndmask_b32_e32 v2, v7, v8, vcc
	v_cmp_eq_u32_e32 vcc, s8, v6
	v_cndmask_b32_e32 v2, v3, v2, vcc
	v_lshrrev_b32_e32 v3, 16, v1
	s_mov_b32 s8, 0x8000
	v_and_or_b32 v2, v3, s8, v2
	global_store_short v[4:5], v2, off
.LBB7_412:
	s_mov_b64 s[8:9], 0
.LBB7_413:
	s_andn2_b64 vcc, exec, s[8:9]
	s_cbranch_vccnz .LBB7_429
; %bb.414:
	s_cmp_lt_i32 s10, 2
	s_mov_b64 s[8:9], -1
	s_cbranch_scc1 .LBB7_424
; %bb.415:
	s_cmp_lt_i32 s10, 3
	s_cbranch_scc1 .LBB7_421
; %bb.416:
	s_cmp_gt_i32 s10, 3
	s_cbranch_scc0 .LBB7_418
; %bb.417:
	v_trunc_f64_e32 v[2:3], v[0:1]
	s_movk_i32 s8, 0xffe0
	v_ldexp_f64 v[6:7], v[2:3], s8
	s_mov_b32 s8, 0
	s_mov_b32 s9, 0xc1f00000
	v_floor_f64_e32 v[6:7], v[6:7]
	v_fma_f64 v[2:3], v[6:7], s[8:9], v[2:3]
	v_cvt_i32_f64_e32 v7, v[6:7]
	s_mov_b64 s[8:9], 0
	v_cvt_u32_f64_e32 v6, v[2:3]
	global_store_dwordx2 v[4:5], v[6:7], off
.LBB7_418:
	s_andn2_b64 vcc, exec, s[8:9]
	s_cbranch_vccnz .LBB7_420
; %bb.419:
	v_cvt_i32_f64_e32 v2, v[0:1]
	global_store_dword v[4:5], v2, off
.LBB7_420:
	s_mov_b64 s[8:9], 0
.LBB7_421:
	s_andn2_b64 vcc, exec, s[8:9]
	s_cbranch_vccnz .LBB7_423
; %bb.422:
	v_cvt_i32_f64_e32 v2, v[0:1]
	global_store_short v[4:5], v2, off
.LBB7_423:
	s_mov_b64 s[8:9], 0
.LBB7_424:
	s_andn2_b64 vcc, exec, s[8:9]
	s_cbranch_vccnz .LBB7_429
; %bb.425:
	s_cmp_gt_i32 s10, 0
	s_mov_b64 s[8:9], -1
	s_cbranch_scc0 .LBB7_427
; %bb.426:
	v_cvt_i32_f64_e32 v2, v[0:1]
	s_mov_b64 s[8:9], 0
	global_store_byte v[4:5], v2, off
.LBB7_427:
	s_andn2_b64 vcc, exec, s[8:9]
	s_cbranch_vccnz .LBB7_429
; %bb.428:
	v_trunc_f64_e32 v[0:1], v[0:1]
	s_movk_i32 s8, 0xffe0
	v_ldexp_f64 v[2:3], v[0:1], s8
	s_mov_b32 s8, 0
	s_mov_b32 s9, 0xc1f00000
	v_floor_f64_e32 v[2:3], v[2:3]
	v_fma_f64 v[0:1], v[2:3], s[8:9], v[0:1]
	v_cvt_u32_f64_e32 v0, v[0:1]
	global_store_byte v[4:5], v0, off
.LBB7_429:
	s_mov_b64 s[8:9], -1
.LBB7_430:
	s_andn2_b64 vcc, exec, s[8:9]
	s_cbranch_vccnz .LBB7_432
; %bb.431:
	v_add_u32_e32 v10, 0x80, v10
	s_mov_b64 s[8:9], -1
	s_branch .LBB7_545
.LBB7_432:
	s_mov_b64 s[8:9], 0
	s_branch .LBB7_544
.LBB7_433:
	s_mov_b64 s[2:3], -1
                                        ; implicit-def: $vgpr3_vgpr4
.LBB7_434:
	s_mov_b64 s[8:9], 0
.LBB7_435:
	s_and_b64 vcc, exec, s[8:9]
	s_cbranch_vccz .LBB7_439
; %bb.436:
	s_cmp_eq_u32 s12, 29
	s_cbranch_scc0 .LBB7_438
; %bb.437:
	global_load_dwordx2 v[3:4], v[0:1], off
	s_mov_b64 s[0:1], -1
	s_mov_b64 s[2:3], 0
	s_mov_b64 s[8:9], 0
	s_waitcnt vmcnt(0)
	v_cvt_f64_u32_e32 v[4:5], v4
	v_cvt_f64_u32_e32 v[6:7], v3
	v_ldexp_f64 v[4:5], v[4:5], 32
	v_add_f64 v[3:4], v[4:5], v[6:7]
	s_branch .LBB7_440
.LBB7_438:
	s_mov_b64 s[2:3], -1
                                        ; implicit-def: $vgpr3_vgpr4
.LBB7_439:
	s_mov_b64 s[8:9], 0
.LBB7_440:
	s_and_b64 vcc, exec, s[8:9]
	s_cbranch_vccz .LBB7_460
; %bb.441:
	s_cmp_lt_i32 s12, 27
	s_cbranch_scc1 .LBB7_444
; %bb.442:
	s_cmp_gt_i32 s12, 27
	s_cbranch_scc0 .LBB7_445
; %bb.443:
	global_load_dword v3, v[0:1], off
	s_mov_b64 s[0:1], 0
	s_waitcnt vmcnt(0)
	v_cvt_f64_u32_e32 v[3:4], v3
	s_branch .LBB7_446
.LBB7_444:
	s_mov_b64 s[0:1], -1
                                        ; implicit-def: $vgpr3_vgpr4
	s_branch .LBB7_449
.LBB7_445:
	s_mov_b64 s[0:1], -1
                                        ; implicit-def: $vgpr3_vgpr4
.LBB7_446:
	s_andn2_b64 vcc, exec, s[0:1]
	s_cbranch_vccnz .LBB7_448
; %bb.447:
	global_load_ushort v3, v[0:1], off
	s_waitcnt vmcnt(0)
	v_cvt_f64_u32_e32 v[3:4], v3
.LBB7_448:
	s_mov_b64 s[0:1], 0
.LBB7_449:
	s_andn2_b64 vcc, exec, s[0:1]
	s_cbranch_vccnz .LBB7_459
; %bb.450:
	global_load_ubyte v5, v[0:1], off
	s_movk_i32 s0, 0x7f
	s_waitcnt vmcnt(0)
	v_cmp_lt_i16_e32 vcc, s0, v5
	s_mov_b64 s[0:1], 0
	s_and_saveexec_b64 s[8:9], vcc
	s_xor_b64 s[8:9], exec, s[8:9]
	s_cbranch_execz .LBB7_454
; %bb.451:
	s_movk_i32 s0, 0x80
	v_cmp_eq_u16_e32 vcc, s0, v5
	s_mov_b64 s[0:1], -1
	s_and_saveexec_b64 s[10:11], vcc
; %bb.452:
	s_xor_b64 s[0:1], exec, -1
; %bb.453:
	s_or_b64 exec, exec, s[10:11]
	s_and_b64 s[0:1], s[0:1], exec
.LBB7_454:
	s_or_saveexec_b64 s[8:9], s[8:9]
	v_bfrev_b32_e32 v3, 4
	v_mov_b32_e32 v4, 0x7ff80000
	s_xor_b64 exec, exec, s[8:9]
; %bb.455:
	v_cmp_ne_u16_e32 vcc, 0, v5
	v_mov_b32_e32 v3, 0
	s_andn2_b64 s[0:1], s[0:1], exec
	s_and_b64 s[10:11], vcc, exec
	v_mov_b32_e32 v4, 0
	s_or_b64 s[0:1], s[0:1], s[10:11]
; %bb.456:
	s_or_b64 exec, exec, s[8:9]
	s_and_saveexec_b64 s[8:9], s[0:1]
	s_cbranch_execz .LBB7_458
; %bb.457:
	v_and_b32_e32 v4, 0xffff, v5
	v_lshlrev_b32_e32 v3, 24, v5
	v_and_b32_e32 v5, 7, v4
	v_ffbh_u32_e32 v7, v5
	v_min_u32_e32 v7, 32, v7
	v_subrev_u32_e32 v8, 28, v7
	v_bfe_u32 v6, v4, 3, 4
	v_lshlrev_b32_e32 v4, v8, v4
	v_sub_u32_e32 v7, 29, v7
	v_and_b32_e32 v4, 7, v4
	v_cmp_eq_u32_e32 vcc, 0, v6
	v_cndmask_b32_e32 v6, v6, v7, vcc
	v_cndmask_b32_e32 v4, v5, v4, vcc
	v_mov_b32_e32 v5, 0x3b800000
	v_lshlrev_b32_e32 v4, 20, v4
	v_and_b32_e32 v3, 0x80000000, v3
	v_lshl_add_u32 v5, v6, 23, v5
	v_or3_b32 v3, v3, v5, v4
	v_cvt_f64_f32_e32 v[3:4], v3
.LBB7_458:
	s_or_b64 exec, exec, s[8:9]
.LBB7_459:
	s_mov_b64 s[0:1], -1
.LBB7_460:
	s_mov_b64 s[8:9], 0
.LBB7_461:
	s_and_b64 vcc, exec, s[8:9]
	s_cbranch_vccz .LBB7_494
; %bb.462:
	s_cmp_gt_i32 s12, 22
	s_cbranch_scc0 .LBB7_474
; %bb.463:
	s_cmp_lt_i32 s12, 24
	s_cbranch_scc1 .LBB7_475
; %bb.464:
	s_cmp_gt_i32 s12, 24
	s_cbranch_scc0 .LBB7_476
; %bb.465:
	global_load_ubyte v5, v[0:1], off
	s_movk_i32 s0, 0x7f
	s_waitcnt vmcnt(0)
	v_cmp_lt_i16_e32 vcc, s0, v5
	s_mov_b64 s[0:1], 0
	s_and_saveexec_b64 s[8:9], vcc
	s_xor_b64 s[8:9], exec, s[8:9]
	s_cbranch_execz .LBB7_469
; %bb.466:
	s_movk_i32 s0, 0x80
	v_cmp_eq_u16_e32 vcc, s0, v5
	s_mov_b64 s[0:1], -1
	s_and_saveexec_b64 s[10:11], vcc
; %bb.467:
	s_xor_b64 s[0:1], exec, -1
; %bb.468:
	s_or_b64 exec, exec, s[10:11]
	s_and_b64 s[0:1], s[0:1], exec
.LBB7_469:
	s_or_saveexec_b64 s[8:9], s[8:9]
	v_bfrev_b32_e32 v3, 4
	v_mov_b32_e32 v4, 0x7ff80000
	s_xor_b64 exec, exec, s[8:9]
; %bb.470:
	v_cmp_ne_u16_e32 vcc, 0, v5
	v_mov_b32_e32 v3, 0
	s_andn2_b64 s[0:1], s[0:1], exec
	s_and_b64 s[10:11], vcc, exec
	v_mov_b32_e32 v4, 0
	s_or_b64 s[0:1], s[0:1], s[10:11]
; %bb.471:
	s_or_b64 exec, exec, s[8:9]
	s_and_saveexec_b64 s[8:9], s[0:1]
	s_cbranch_execz .LBB7_473
; %bb.472:
	v_and_b32_e32 v4, 0xffff, v5
	v_lshlrev_b32_e32 v3, 24, v5
	v_and_b32_e32 v5, 3, v4
	v_ffbh_u32_e32 v7, v5
	v_min_u32_e32 v7, 32, v7
	v_subrev_u32_e32 v8, 29, v7
	v_bfe_u32 v6, v4, 2, 5
	v_lshlrev_b32_e32 v4, v8, v4
	v_sub_u32_e32 v7, 30, v7
	v_and_b32_e32 v4, 3, v4
	v_cmp_eq_u32_e32 vcc, 0, v6
	v_cndmask_b32_e32 v6, v6, v7, vcc
	v_cndmask_b32_e32 v4, v5, v4, vcc
	v_mov_b32_e32 v5, 0x37800000
	v_lshlrev_b32_e32 v4, 21, v4
	v_and_b32_e32 v3, 0x80000000, v3
	v_lshl_add_u32 v5, v6, 23, v5
	v_or3_b32 v3, v3, v5, v4
	v_cvt_f64_f32_e32 v[3:4], v3
.LBB7_473:
	s_or_b64 exec, exec, s[8:9]
	s_mov_b64 s[0:1], 0
	s_branch .LBB7_477
.LBB7_474:
	s_mov_b64 s[8:9], -1
                                        ; implicit-def: $vgpr3_vgpr4
	s_branch .LBB7_483
.LBB7_475:
	s_mov_b64 s[0:1], -1
                                        ; implicit-def: $vgpr3_vgpr4
	s_branch .LBB7_480
.LBB7_476:
	s_mov_b64 s[0:1], -1
                                        ; implicit-def: $vgpr3_vgpr4
.LBB7_477:
	s_and_b64 vcc, exec, s[0:1]
	s_cbranch_vccz .LBB7_479
; %bb.478:
	global_load_ubyte v3, v[0:1], off
	s_mov_b32 s0, 0x7f800000
	s_waitcnt vmcnt(0)
	v_lshlrev_b32_e32 v3, 24, v3
	v_and_b32_e32 v4, 0x7f000000, v3
	v_ffbh_u32_e32 v5, v4
	v_min_u32_e32 v5, 32, v5
	v_sub_u32_e64 v5, v5, 4 clamp
	v_lshlrev_b32_e32 v7, v5, v4
	v_lshlrev_b32_e32 v5, 23, v5
	v_lshrrev_b32_e32 v7, 4, v7
	v_add_u32_e32 v6, 0x1000000, v4
	v_sub_u32_e32 v5, v7, v5
	v_ashrrev_i32_e32 v6, 8, v6
	v_add_u32_e32 v5, 0x3c000000, v5
	v_and_or_b32 v5, v6, s0, v5
	v_cmp_ne_u32_e32 vcc, 0, v4
	v_cndmask_b32_e32 v4, 0, v5, vcc
	s_brev_b32 s0, 1
	v_and_or_b32 v3, v3, s0, v4
	v_cvt_f64_f32_e32 v[3:4], v3
.LBB7_479:
	s_mov_b64 s[0:1], 0
.LBB7_480:
	s_andn2_b64 vcc, exec, s[0:1]
	s_cbranch_vccnz .LBB7_482
; %bb.481:
	global_load_ubyte v3, v[0:1], off
	s_movk_i32 s0, 0x7f00
	s_brev_b32 s1, 16
	s_waitcnt vmcnt(0)
	v_lshlrev_b16_e32 v4, 8, v3
	v_lshlrev_b32_e32 v3, 25, v3
	v_lshrrev_b32_e32 v5, 4, v3
	v_and_or_b32 v6, v4, s0, 0.5
	v_or_b32_e32 v5, 0x70000000, v5
	v_add_f32_e32 v6, -0.5, v6
	v_mul_f32_e32 v5, 0x7800000, v5
	v_cmp_gt_u32_e32 vcc, s1, v3
	v_bfe_i32 v4, v4, 0, 16
	v_cndmask_b32_e32 v3, v5, v6, vcc
	s_brev_b32 s0, 1
	v_and_or_b32 v3, v4, s0, v3
	v_cvt_f64_f32_e32 v[3:4], v3
.LBB7_482:
	s_mov_b64 s[8:9], 0
	s_mov_b64 s[0:1], -1
.LBB7_483:
	s_andn2_b64 vcc, exec, s[8:9]
	s_cbranch_vccnz .LBB7_494
; %bb.484:
	s_cmp_gt_i32 s12, 14
	s_cbranch_scc0 .LBB7_487
; %bb.485:
	s_cmp_eq_u32 s12, 15
	s_cbranch_scc0 .LBB7_488
; %bb.486:
	global_load_ushort v3, v[0:1], off
	s_mov_b64 s[0:1], -1
	s_mov_b64 s[2:3], 0
	s_waitcnt vmcnt(0)
	v_lshlrev_b32_e32 v3, 16, v3
	v_cvt_f64_f32_e32 v[3:4], v3
	s_branch .LBB7_489
.LBB7_487:
	s_mov_b64 s[8:9], -1
                                        ; implicit-def: $vgpr3_vgpr4
	s_branch .LBB7_490
.LBB7_488:
	s_mov_b64 s[2:3], -1
                                        ; implicit-def: $vgpr3_vgpr4
.LBB7_489:
	s_mov_b64 s[8:9], 0
.LBB7_490:
	s_and_b64 vcc, exec, s[8:9]
	s_cbranch_vccz .LBB7_494
; %bb.491:
	s_cmp_eq_u32 s12, 11
	s_cbranch_scc0 .LBB7_493
; %bb.492:
	global_load_ubyte v4, v[0:1], off
	v_mov_b32_e32 v5, 0x3ff00000
	s_waitcnt vmcnt(1)
	v_mov_b32_e32 v3, 0
	s_mov_b64 s[0:1], -1
	s_mov_b64 s[2:3], 0
	s_waitcnt vmcnt(0)
	v_cmp_ne_u16_e32 vcc, 0, v4
	v_cndmask_b32_e32 v4, 0, v5, vcc
	s_branch .LBB7_494
.LBB7_493:
	s_mov_b64 s[2:3], -1
                                        ; implicit-def: $vgpr3_vgpr4
.LBB7_494:
	s_branch .LBB7_295
.LBB7_495:
	s_cmp_lt_i32 s12, 5
	s_cbranch_scc1 .LBB7_500
; %bb.496:
	s_cmp_lt_i32 s12, 8
	s_cbranch_scc1 .LBB7_501
; %bb.497:
	;; [unrolled: 3-line block ×3, first 2 shown]
	s_cmp_gt_i32 s12, 9
	s_cbranch_scc0 .LBB7_503
; %bb.499:
	global_load_dwordx2 v[3:4], v[0:1], off
	s_mov_b64 s[0:1], 0
	s_branch .LBB7_504
.LBB7_500:
	s_mov_b64 s[0:1], -1
                                        ; implicit-def: $vgpr3_vgpr4
	s_branch .LBB7_522
.LBB7_501:
	s_mov_b64 s[0:1], -1
                                        ; implicit-def: $vgpr3_vgpr4
	s_branch .LBB7_510
.LBB7_502:
	s_mov_b64 s[0:1], -1
                                        ; implicit-def: $vgpr3_vgpr4
	s_branch .LBB7_507
.LBB7_503:
	s_mov_b64 s[0:1], -1
                                        ; implicit-def: $vgpr3_vgpr4
.LBB7_504:
	s_andn2_b64 vcc, exec, s[0:1]
	s_cbranch_vccnz .LBB7_506
; %bb.505:
	global_load_dword v3, v[0:1], off
	s_waitcnt vmcnt(0)
	v_cvt_f64_f32_e32 v[3:4], v3
.LBB7_506:
	s_mov_b64 s[0:1], 0
.LBB7_507:
	s_andn2_b64 vcc, exec, s[0:1]
	s_cbranch_vccnz .LBB7_509
; %bb.508:
	global_load_dword v3, v[0:1], off
	s_waitcnt vmcnt(0)
	v_cvt_f32_f16_e32 v3, v3
	v_cvt_f64_f32_e32 v[3:4], v3
.LBB7_509:
	s_mov_b64 s[0:1], 0
.LBB7_510:
	s_andn2_b64 vcc, exec, s[0:1]
	s_cbranch_vccnz .LBB7_521
; %bb.511:
	s_cmp_lt_i32 s12, 6
	s_cbranch_scc1 .LBB7_514
; %bb.512:
	s_cmp_gt_i32 s12, 6
	s_cbranch_scc0 .LBB7_515
; %bb.513:
	global_load_dwordx2 v[3:4], v[0:1], off
	s_mov_b64 s[0:1], 0
	s_branch .LBB7_516
.LBB7_514:
	s_mov_b64 s[0:1], -1
                                        ; implicit-def: $vgpr3_vgpr4
	s_branch .LBB7_519
.LBB7_515:
	s_mov_b64 s[0:1], -1
                                        ; implicit-def: $vgpr3_vgpr4
.LBB7_516:
	s_andn2_b64 vcc, exec, s[0:1]
	s_cbranch_vccnz .LBB7_518
; %bb.517:
	global_load_dword v3, v[0:1], off
	s_waitcnt vmcnt(0)
	v_cvt_f64_f32_e32 v[3:4], v3
.LBB7_518:
	s_mov_b64 s[0:1], 0
.LBB7_519:
	s_andn2_b64 vcc, exec, s[0:1]
	s_cbranch_vccnz .LBB7_521
; %bb.520:
	global_load_ushort v3, v[0:1], off
	s_waitcnt vmcnt(0)
	v_cvt_f32_f16_e32 v3, v3
	v_cvt_f64_f32_e32 v[3:4], v3
.LBB7_521:
	s_mov_b64 s[0:1], 0
.LBB7_522:
	s_andn2_b64 vcc, exec, s[0:1]
	s_cbranch_vccnz .LBB7_542
; %bb.523:
	s_cmp_lt_i32 s12, 2
	s_cbranch_scc1 .LBB7_527
; %bb.524:
	s_cmp_lt_i32 s12, 3
	s_cbranch_scc1 .LBB7_528
; %bb.525:
	s_cmp_gt_i32 s12, 3
	s_cbranch_scc0 .LBB7_529
; %bb.526:
	global_load_dwordx2 v[3:4], v[0:1], off
	s_mov_b64 s[0:1], 0
	s_waitcnt vmcnt(0)
	v_cvt_f64_i32_e32 v[4:5], v4
	v_cvt_f64_u32_e32 v[6:7], v3
	v_ldexp_f64 v[4:5], v[4:5], 32
	v_add_f64 v[3:4], v[4:5], v[6:7]
	s_branch .LBB7_530
.LBB7_527:
	s_mov_b64 s[0:1], -1
                                        ; implicit-def: $vgpr3_vgpr4
	s_branch .LBB7_536
.LBB7_528:
	s_mov_b64 s[0:1], -1
                                        ; implicit-def: $vgpr3_vgpr4
	s_branch .LBB7_533
.LBB7_529:
	s_mov_b64 s[0:1], -1
                                        ; implicit-def: $vgpr3_vgpr4
.LBB7_530:
	s_andn2_b64 vcc, exec, s[0:1]
	s_cbranch_vccnz .LBB7_532
; %bb.531:
	global_load_dword v3, v[0:1], off
	s_waitcnt vmcnt(0)
	v_cvt_f64_i32_e32 v[3:4], v3
.LBB7_532:
	s_mov_b64 s[0:1], 0
.LBB7_533:
	s_andn2_b64 vcc, exec, s[0:1]
	s_cbranch_vccnz .LBB7_535
; %bb.534:
	global_load_sshort v3, v[0:1], off
	s_waitcnt vmcnt(0)
	v_cvt_f64_i32_e32 v[3:4], v3
.LBB7_535:
	s_mov_b64 s[0:1], 0
.LBB7_536:
	s_andn2_b64 vcc, exec, s[0:1]
	s_cbranch_vccnz .LBB7_542
; %bb.537:
	s_cmp_gt_i32 s12, 0
	s_cbranch_scc0 .LBB7_539
; %bb.538:
	global_load_sbyte v3, v[0:1], off
	s_mov_b64 s[0:1], 0
	s_waitcnt vmcnt(0)
	v_cvt_f64_i32_e32 v[3:4], v3
	s_branch .LBB7_540
.LBB7_539:
	s_mov_b64 s[0:1], -1
                                        ; implicit-def: $vgpr3_vgpr4
.LBB7_540:
	s_andn2_b64 vcc, exec, s[0:1]
	s_cbranch_vccnz .LBB7_542
; %bb.541:
	global_load_ubyte v0, v[0:1], off
	s_waitcnt vmcnt(0)
	v_cvt_f64_u32_e32 v[3:4], v0
.LBB7_542:
	s_branch .LBB7_296
.LBB7_543:
	s_mov_b64 s[8:9], 0
	s_mov_b64 s[0:1], s[54:55]
.LBB7_544:
                                        ; implicit-def: $vgpr10
.LBB7_545:
	s_andn2_b64 s[10:11], s[54:55], exec
	s_and_b64 s[0:1], s[0:1], exec
	s_or_b64 s[62:63], s[10:11], s[0:1]
	s_andn2_b64 s[0:1], s[56:57], exec
	s_and_b64 s[2:3], s[2:3], exec
	s_or_b64 s[60:61], s[0:1], s[2:3]
	s_orn2_b64 s[0:1], s[8:9], exec
.LBB7_546:
	s_or_b64 exec, exec, s[64:65]
	s_mov_b64 s[2:3], 0
	s_mov_b64 s[8:9], 0
	;; [unrolled: 1-line block ×3, first 2 shown]
                                        ; implicit-def: $vgpr0_vgpr1
                                        ; implicit-def: $vgpr2
                                        ; implicit-def: $vgpr6_vgpr7
	s_and_saveexec_b64 s[64:65], s[0:1]
	s_cbranch_execz .LBB7_923
; %bb.547:
	v_cmp_gt_i32_e32 vcc, s72, v10
	s_mov_b64 s[2:3], -1
	s_mov_b64 s[68:69], s[60:61]
	s_mov_b64 s[70:71], s[62:63]
	s_and_saveexec_b64 s[66:67], vcc
	s_cbranch_execz .LBB7_823
; %bb.548:
	s_andn2_b64 vcc, exec, s[40:41]
	s_cbranch_vccnz .LBB7_553
; %bb.549:
	s_andn2_b64 vcc, exec, s[52:53]
	s_cbranch_vccnz .LBB7_554
; %bb.550:
	s_add_i32 s78, s77, 1
	s_cmp_eq_u32 s74, 2
	s_cbranch_scc1 .LBB7_555
; %bb.551:
	s_and_b32 s73, s78, 28
	v_mov_b32_e32 v0, 0
	s_mov_b32 s79, 0
	s_mov_b64 s[68:69], s[34:35]
	s_mov_b64 s[70:71], s[50:51]
	v_mov_b32_e32 v2, 0
	v_mov_b32_e32 v1, v10
.LBB7_552:                              ; =>This Inner Loop Header: Depth=1
	s_load_dwordx8 s[16:23], s[68:69], 0x4
	s_load_dwordx4 s[0:3], s[68:69], 0x24
	s_load_dwordx8 s[8:15], s[70:71], 0x0
	s_add_u32 s68, s68, 48
	s_addc_u32 s69, s69, 0
	s_waitcnt vmcnt(0) lgkmcnt(0)
	v_mul_hi_u32 v3, s17, v1
	s_add_i32 s79, s79, 4
	s_add_u32 s70, s70, 32
	s_addc_u32 s71, s71, 0
	v_add_u32_e32 v3, v1, v3
	v_lshrrev_b32_e32 v3, s18, v3
	v_mul_lo_u32 v4, v3, s16
	v_mul_hi_u32 v5, s20, v3
	s_cmp_eq_u32 s73, s79
	v_sub_u32_e32 v1, v1, v4
	v_add_u32_e32 v4, v3, v5
	v_mul_lo_u32 v5, v1, s8
	v_mul_lo_u32 v6, v1, s9
	v_lshrrev_b32_e32 v1, s21, v4
	v_mul_lo_u32 v4, v1, s19
	v_mul_hi_u32 v7, s23, v1
	v_sub_u32_e32 v3, v3, v4
	v_add_u32_e32 v4, v1, v7
	v_lshrrev_b32_e32 v4, s0, v4
	v_mul_hi_u32 v8, s2, v4
	v_mul_lo_u32 v9, v4, s22
	v_mul_lo_u32 v7, v3, s10
	;; [unrolled: 1-line block ×3, first 2 shown]
	v_sub_u32_e32 v9, v1, v9
	v_add_u32_e32 v1, v4, v8
	v_lshrrev_b32_e32 v1, s3, v1
	v_mul_lo_u32 v8, v1, s1
	v_mul_lo_u32 v11, v9, s12
	v_mul_lo_u32 v9, v9, s13
	v_add3_u32 v2, v5, v2, v7
	v_sub_u32_e32 v4, v4, v8
	v_mul_lo_u32 v8, v4, s14
	v_mul_lo_u32 v4, v4, s15
	v_add3_u32 v0, v6, v0, v3
	v_add3_u32 v2, v11, v2, v8
	;; [unrolled: 1-line block ×3, first 2 shown]
	s_cbranch_scc0 .LBB7_552
	s_branch .LBB7_556
.LBB7_553:
	s_mov_b64 s[0:1], -1
                                        ; implicit-def: $vgpr2
                                        ; implicit-def: $vgpr0
	s_branch .LBB7_560
.LBB7_554:
	v_mov_b32_e32 v2, 0
	v_mov_b32_e32 v0, 0
	s_branch .LBB7_559
.LBB7_555:
	s_mov_b32 s73, 0
	v_mov_b32_e32 v2, 0
	v_mov_b32_e32 v0, 0
	;; [unrolled: 1-line block ×3, first 2 shown]
.LBB7_556:
	s_and_b32 s8, s78, 3
	s_cmp_eq_u32 s8, 0
	s_cbranch_scc1 .LBB7_559
; %bb.557:
	s_lshl_b32 s0, s73, 3
	s_add_u32 s0, s34, s0
	s_addc_u32 s1, s35, 0
	s_add_u32 s0, s0, 0xc4
	s_addc_u32 s1, s1, 0
	s_mul_i32 s2, s73, 12
	s_add_u32 s2, s34, s2
	s_addc_u32 s3, s35, 0
.LBB7_558:                              ; =>This Inner Loop Header: Depth=1
	s_load_dwordx2 s[10:11], s[2:3], 0x4
	s_load_dword s9, s[2:3], 0xc
	s_load_dwordx2 s[12:13], s[0:1], 0x0
	s_add_u32 s2, s2, 12
	s_addc_u32 s3, s3, 0
	s_waitcnt vmcnt(0) lgkmcnt(0)
	v_mul_hi_u32 v3, s11, v1
	s_add_u32 s0, s0, 8
	s_addc_u32 s1, s1, 0
	s_add_i32 s8, s8, -1
	v_add_u32_e32 v3, v1, v3
	v_lshrrev_b32_e32 v4, s9, v3
	v_mul_lo_u32 v3, v4, s10
	s_cmp_lg_u32 s8, 0
	v_sub_u32_e32 v1, v1, v3
	v_mad_u64_u32 v[2:3], s[10:11], v1, s12, v[2:3]
	v_mad_u64_u32 v[0:1], s[10:11], v1, s13, v[0:1]
	v_mov_b32_e32 v1, v4
	s_cbranch_scc1 .LBB7_558
.LBB7_559:
	s_mov_b64 s[0:1], 0
.LBB7_560:
	s_andn2_b64 vcc, exec, s[0:1]
	s_cbranch_vccnz .LBB7_563
; %bb.561:
	v_mul_hi_u32 v0, s29, v10
	s_andn2_b64 vcc, exec, s[48:49]
	v_add_u32_e32 v0, v10, v0
	v_lshrrev_b32_e32 v1, s30, v0
	v_mul_lo_u32 v0, v1, s28
	v_sub_u32_e32 v0, v10, v0
	v_mul_lo_u32 v2, v0, s36
	v_mul_lo_u32 v0, v0, s37
	s_cbranch_vccnz .LBB7_563
; %bb.562:
	s_waitcnt vmcnt(0)
	v_mul_hi_u32 v3, s46, v1
	v_add_u32_e32 v3, v1, v3
	v_lshrrev_b32_e32 v3, s47, v3
	v_mul_lo_u32 v3, v3, s31
	v_sub_u32_e32 v1, v1, v3
	v_mad_u64_u32 v[2:3], s[0:1], v1, s38, v[2:3]
	v_mad_u64_u32 v[0:1], s[0:1], v1, s39, v[0:1]
.LBB7_563:
	v_mov_b32_e32 v1, s27
	s_and_b32 s12, 0xffff, s76
	v_add_co_u32_e32 v0, vcc, s26, v0
	s_cmp_lt_i32 s12, 11
	v_addc_co_u32_e32 v1, vcc, 0, v1, vcc
	s_cbranch_scc1 .LBB7_570
; %bb.564:
	s_cmp_gt_i32 s12, 25
	s_cbranch_scc0 .LBB7_571
; %bb.565:
	s_cmp_gt_i32 s12, 28
	s_cbranch_scc0 .LBB7_572
	;; [unrolled: 3-line block ×4, first 2 shown]
; %bb.568:
	s_cmp_eq_u32 s12, 46
	s_mov_b64 s[8:9], 0
	s_cbranch_scc0 .LBB7_579
; %bb.569:
	global_load_dword v3, v[0:1], off
	s_mov_b64 s[0:1], -1
	s_mov_b64 s[2:3], 0
	s_waitcnt vmcnt(0)
	v_lshlrev_b32_e32 v3, 16, v3
	v_cvt_f64_f32_e32 v[3:4], v3
	s_branch .LBB7_580
.LBB7_570:
	s_mov_b64 s[8:9], -1
	s_mov_b64 s[0:1], 0
                                        ; implicit-def: $vgpr3_vgpr4
	s_mov_b64 s[2:3], s[60:61]
	s_branch .LBB7_645
.LBB7_571:
	s_mov_b64 s[8:9], -1
	s_mov_b64 s[0:1], 0
	s_mov_b64 s[2:3], s[60:61]
                                        ; implicit-def: $vgpr3_vgpr4
	s_branch .LBB7_611
.LBB7_572:
	s_mov_b64 s[8:9], -1
	s_mov_b64 s[0:1], 0
	s_mov_b64 s[2:3], s[60:61]
                                        ; implicit-def: $vgpr3_vgpr4
	s_branch .LBB7_590
.LBB7_573:
	s_mov_b64 s[8:9], -1
	s_mov_b64 s[0:1], 0
	s_mov_b64 s[2:3], s[60:61]
                                        ; implicit-def: $vgpr3_vgpr4
	s_branch .LBB7_585
.LBB7_574:
	s_andn2_saveexec_b64 s[12:13], s[12:13]
	s_cbranch_execz .LBB7_343
.LBB7_575:
	s_mov_b32 s16, 0x46000000
	v_add_f32_e64 v3, |v2|, s16
	v_and_b32_e32 v3, 0xff, v3
	v_cmp_ne_u32_e32 vcc, 0, v3
	s_andn2_b64 s[10:11], s[10:11], exec
	s_and_b64 s[16:17], vcc, exec
	s_or_b64 s[10:11], s[10:11], s[16:17]
	s_or_b64 exec, exec, s[12:13]
	v_mov_b32_e32 v6, 0
	s_and_saveexec_b64 s[12:13], s[10:11]
	s_cbranch_execnz .LBB7_344
	s_branch .LBB7_345
.LBB7_576:
	s_mov_b64 s[8:9], -1
	s_mov_b64 s[0:1], 0
	s_mov_b64 s[2:3], s[60:61]
                                        ; implicit-def: $vgpr3_vgpr4
	s_branch .LBB7_580
.LBB7_577:
	s_andn2_saveexec_b64 s[12:13], s[12:13]
	s_cbranch_execz .LBB7_356
.LBB7_578:
	s_mov_b32 s16, 0x42800000
	v_add_f32_e64 v3, |v2|, s16
	v_and_b32_e32 v3, 0xff, v3
	v_cmp_ne_u32_e32 vcc, 0, v3
	s_andn2_b64 s[10:11], s[10:11], exec
	s_and_b64 s[16:17], vcc, exec
	s_or_b64 s[10:11], s[10:11], s[16:17]
	s_or_b64 exec, exec, s[12:13]
	v_mov_b32_e32 v6, 0
	s_and_saveexec_b64 s[12:13], s[10:11]
	s_cbranch_execnz .LBB7_357
	s_branch .LBB7_358
.LBB7_579:
	s_mov_b64 s[2:3], -1
                                        ; implicit-def: $vgpr3_vgpr4
	s_mov_b64 s[0:1], 0
.LBB7_580:
	s_and_b64 vcc, exec, s[8:9]
	s_cbranch_vccz .LBB7_584
; %bb.581:
	s_cmp_eq_u32 s12, 44
	s_cbranch_scc0 .LBB7_583
; %bb.582:
	global_load_ubyte v5, v[0:1], off
	s_movk_i32 s2, 0xff
	v_bfrev_b32_e32 v6, 4
	v_mov_b32_e32 v7, 0x7ff80000
	v_bfrev_b32_e32 v8, 28
	s_mov_b64 s[0:1], -1
	s_waitcnt vmcnt(0)
	v_lshlrev_b32_e32 v3, 23, v5
	v_cvt_f64_f32_e32 v[3:4], v3
	v_cmp_ne_u32_e32 vcc, s2, v5
	s_mov_b64 s[2:3], 0
	v_cndmask_b32_e32 v3, v6, v3, vcc
	v_cndmask_b32_e32 v4, v7, v4, vcc
	v_cmp_ne_u32_e32 vcc, 0, v5
	v_cndmask_b32_e32 v4, v8, v4, vcc
	v_cndmask_b32_e32 v3, 0, v3, vcc
	s_branch .LBB7_584
.LBB7_583:
	s_mov_b64 s[2:3], -1
                                        ; implicit-def: $vgpr3_vgpr4
.LBB7_584:
	s_mov_b64 s[8:9], 0
.LBB7_585:
	s_and_b64 vcc, exec, s[8:9]
	s_cbranch_vccz .LBB7_589
; %bb.586:
	s_cmp_eq_u32 s12, 29
	s_cbranch_scc0 .LBB7_588
; %bb.587:
	global_load_dwordx2 v[3:4], v[0:1], off
	s_mov_b64 s[0:1], -1
	s_mov_b64 s[2:3], 0
	s_mov_b64 s[8:9], 0
	s_waitcnt vmcnt(0)
	v_cvt_f64_u32_e32 v[4:5], v4
	v_cvt_f64_u32_e32 v[6:7], v3
	v_ldexp_f64 v[4:5], v[4:5], 32
	v_add_f64 v[3:4], v[4:5], v[6:7]
	s_branch .LBB7_590
.LBB7_588:
	s_mov_b64 s[2:3], -1
                                        ; implicit-def: $vgpr3_vgpr4
.LBB7_589:
	s_mov_b64 s[8:9], 0
.LBB7_590:
	s_and_b64 vcc, exec, s[8:9]
	s_cbranch_vccz .LBB7_610
; %bb.591:
	s_cmp_lt_i32 s12, 27
	s_cbranch_scc1 .LBB7_594
; %bb.592:
	s_cmp_gt_i32 s12, 27
	s_cbranch_scc0 .LBB7_595
; %bb.593:
	global_load_dword v3, v[0:1], off
	s_mov_b64 s[0:1], 0
	s_waitcnt vmcnt(0)
	v_cvt_f64_u32_e32 v[3:4], v3
	s_branch .LBB7_596
.LBB7_594:
	s_mov_b64 s[0:1], -1
                                        ; implicit-def: $vgpr3_vgpr4
	s_branch .LBB7_599
.LBB7_595:
	s_mov_b64 s[0:1], -1
                                        ; implicit-def: $vgpr3_vgpr4
.LBB7_596:
	s_andn2_b64 vcc, exec, s[0:1]
	s_cbranch_vccnz .LBB7_598
; %bb.597:
	global_load_ushort v3, v[0:1], off
	s_waitcnt vmcnt(0)
	v_cvt_f64_u32_e32 v[3:4], v3
.LBB7_598:
	s_mov_b64 s[0:1], 0
.LBB7_599:
	s_andn2_b64 vcc, exec, s[0:1]
	s_cbranch_vccnz .LBB7_609
; %bb.600:
	global_load_ubyte v5, v[0:1], off
	s_movk_i32 s0, 0x7f
	s_waitcnt vmcnt(0)
	v_cmp_lt_i16_e32 vcc, s0, v5
	s_mov_b64 s[0:1], 0
	s_and_saveexec_b64 s[8:9], vcc
	s_xor_b64 s[8:9], exec, s[8:9]
	s_cbranch_execz .LBB7_604
; %bb.601:
	s_movk_i32 s0, 0x80
	v_cmp_eq_u16_e32 vcc, s0, v5
	s_mov_b64 s[0:1], -1
	s_and_saveexec_b64 s[10:11], vcc
; %bb.602:
	s_xor_b64 s[0:1], exec, -1
; %bb.603:
	s_or_b64 exec, exec, s[10:11]
	s_and_b64 s[0:1], s[0:1], exec
.LBB7_604:
	s_or_saveexec_b64 s[8:9], s[8:9]
	v_bfrev_b32_e32 v3, 4
	v_mov_b32_e32 v4, 0x7ff80000
	s_xor_b64 exec, exec, s[8:9]
; %bb.605:
	v_cmp_ne_u16_e32 vcc, 0, v5
	v_mov_b32_e32 v3, 0
	s_andn2_b64 s[0:1], s[0:1], exec
	s_and_b64 s[10:11], vcc, exec
	v_mov_b32_e32 v4, 0
	s_or_b64 s[0:1], s[0:1], s[10:11]
; %bb.606:
	s_or_b64 exec, exec, s[8:9]
	s_and_saveexec_b64 s[8:9], s[0:1]
	s_cbranch_execz .LBB7_608
; %bb.607:
	v_and_b32_e32 v4, 0xffff, v5
	v_lshlrev_b32_e32 v3, 24, v5
	v_and_b32_e32 v5, 7, v4
	v_ffbh_u32_e32 v7, v5
	v_min_u32_e32 v7, 32, v7
	v_subrev_u32_e32 v8, 28, v7
	v_bfe_u32 v6, v4, 3, 4
	v_lshlrev_b32_e32 v4, v8, v4
	v_sub_u32_e32 v7, 29, v7
	v_and_b32_e32 v4, 7, v4
	v_cmp_eq_u32_e32 vcc, 0, v6
	v_cndmask_b32_e32 v6, v6, v7, vcc
	v_cndmask_b32_e32 v4, v5, v4, vcc
	v_mov_b32_e32 v5, 0x3b800000
	v_lshlrev_b32_e32 v4, 20, v4
	v_and_b32_e32 v3, 0x80000000, v3
	v_lshl_add_u32 v5, v6, 23, v5
	v_or3_b32 v3, v3, v5, v4
	v_cvt_f64_f32_e32 v[3:4], v3
.LBB7_608:
	s_or_b64 exec, exec, s[8:9]
.LBB7_609:
	s_mov_b64 s[0:1], -1
.LBB7_610:
	s_mov_b64 s[8:9], 0
.LBB7_611:
	s_and_b64 vcc, exec, s[8:9]
	s_cbranch_vccz .LBB7_644
; %bb.612:
	s_cmp_gt_i32 s12, 22
	s_cbranch_scc0 .LBB7_624
; %bb.613:
	s_cmp_lt_i32 s12, 24
	s_cbranch_scc1 .LBB7_625
; %bb.614:
	s_cmp_gt_i32 s12, 24
	s_cbranch_scc0 .LBB7_626
; %bb.615:
	global_load_ubyte v5, v[0:1], off
	s_movk_i32 s0, 0x7f
	s_waitcnt vmcnt(0)
	v_cmp_lt_i16_e32 vcc, s0, v5
	s_mov_b64 s[0:1], 0
	s_and_saveexec_b64 s[8:9], vcc
	s_xor_b64 s[8:9], exec, s[8:9]
	s_cbranch_execz .LBB7_619
; %bb.616:
	s_movk_i32 s0, 0x80
	v_cmp_eq_u16_e32 vcc, s0, v5
	s_mov_b64 s[0:1], -1
	s_and_saveexec_b64 s[10:11], vcc
; %bb.617:
	s_xor_b64 s[0:1], exec, -1
; %bb.618:
	s_or_b64 exec, exec, s[10:11]
	s_and_b64 s[0:1], s[0:1], exec
.LBB7_619:
	s_or_saveexec_b64 s[8:9], s[8:9]
	v_bfrev_b32_e32 v3, 4
	v_mov_b32_e32 v4, 0x7ff80000
	s_xor_b64 exec, exec, s[8:9]
; %bb.620:
	v_cmp_ne_u16_e32 vcc, 0, v5
	v_mov_b32_e32 v3, 0
	s_andn2_b64 s[0:1], s[0:1], exec
	s_and_b64 s[10:11], vcc, exec
	v_mov_b32_e32 v4, 0
	s_or_b64 s[0:1], s[0:1], s[10:11]
; %bb.621:
	s_or_b64 exec, exec, s[8:9]
	s_and_saveexec_b64 s[8:9], s[0:1]
	s_cbranch_execz .LBB7_623
; %bb.622:
	v_and_b32_e32 v4, 0xffff, v5
	v_lshlrev_b32_e32 v3, 24, v5
	v_and_b32_e32 v5, 3, v4
	v_ffbh_u32_e32 v7, v5
	v_min_u32_e32 v7, 32, v7
	v_subrev_u32_e32 v8, 29, v7
	v_bfe_u32 v6, v4, 2, 5
	v_lshlrev_b32_e32 v4, v8, v4
	v_sub_u32_e32 v7, 30, v7
	v_and_b32_e32 v4, 3, v4
	v_cmp_eq_u32_e32 vcc, 0, v6
	v_cndmask_b32_e32 v6, v6, v7, vcc
	v_cndmask_b32_e32 v4, v5, v4, vcc
	v_mov_b32_e32 v5, 0x37800000
	v_lshlrev_b32_e32 v4, 21, v4
	v_and_b32_e32 v3, 0x80000000, v3
	v_lshl_add_u32 v5, v6, 23, v5
	v_or3_b32 v3, v3, v5, v4
	v_cvt_f64_f32_e32 v[3:4], v3
.LBB7_623:
	s_or_b64 exec, exec, s[8:9]
	s_mov_b64 s[0:1], 0
	s_branch .LBB7_627
.LBB7_624:
	s_mov_b64 s[8:9], -1
                                        ; implicit-def: $vgpr3_vgpr4
	s_branch .LBB7_633
.LBB7_625:
	s_mov_b64 s[0:1], -1
                                        ; implicit-def: $vgpr3_vgpr4
	s_branch .LBB7_630
.LBB7_626:
	s_mov_b64 s[0:1], -1
                                        ; implicit-def: $vgpr3_vgpr4
.LBB7_627:
	s_and_b64 vcc, exec, s[0:1]
	s_cbranch_vccz .LBB7_629
; %bb.628:
	global_load_ubyte v3, v[0:1], off
	s_mov_b32 s0, 0x7f800000
	s_waitcnt vmcnt(0)
	v_lshlrev_b32_e32 v3, 24, v3
	v_and_b32_e32 v4, 0x7f000000, v3
	v_ffbh_u32_e32 v5, v4
	v_min_u32_e32 v5, 32, v5
	v_sub_u32_e64 v5, v5, 4 clamp
	v_lshlrev_b32_e32 v7, v5, v4
	v_lshlrev_b32_e32 v5, 23, v5
	v_lshrrev_b32_e32 v7, 4, v7
	v_add_u32_e32 v6, 0x1000000, v4
	v_sub_u32_e32 v5, v7, v5
	v_ashrrev_i32_e32 v6, 8, v6
	v_add_u32_e32 v5, 0x3c000000, v5
	v_and_or_b32 v5, v6, s0, v5
	v_cmp_ne_u32_e32 vcc, 0, v4
	v_cndmask_b32_e32 v4, 0, v5, vcc
	s_brev_b32 s0, 1
	v_and_or_b32 v3, v3, s0, v4
	v_cvt_f64_f32_e32 v[3:4], v3
.LBB7_629:
	s_mov_b64 s[0:1], 0
.LBB7_630:
	s_andn2_b64 vcc, exec, s[0:1]
	s_cbranch_vccnz .LBB7_632
; %bb.631:
	global_load_ubyte v3, v[0:1], off
	s_movk_i32 s0, 0x7f00
	s_brev_b32 s1, 16
	s_waitcnt vmcnt(0)
	v_lshlrev_b16_e32 v4, 8, v3
	v_lshlrev_b32_e32 v3, 25, v3
	v_lshrrev_b32_e32 v5, 4, v3
	v_and_or_b32 v6, v4, s0, 0.5
	v_or_b32_e32 v5, 0x70000000, v5
	v_add_f32_e32 v6, -0.5, v6
	v_mul_f32_e32 v5, 0x7800000, v5
	v_cmp_gt_u32_e32 vcc, s1, v3
	v_bfe_i32 v4, v4, 0, 16
	v_cndmask_b32_e32 v3, v5, v6, vcc
	s_brev_b32 s0, 1
	v_and_or_b32 v3, v4, s0, v3
	v_cvt_f64_f32_e32 v[3:4], v3
.LBB7_632:
	s_mov_b64 s[8:9], 0
	s_mov_b64 s[0:1], -1
.LBB7_633:
	s_andn2_b64 vcc, exec, s[8:9]
	s_cbranch_vccnz .LBB7_644
; %bb.634:
	s_cmp_gt_i32 s12, 14
	s_cbranch_scc0 .LBB7_637
; %bb.635:
	s_cmp_eq_u32 s12, 15
	s_cbranch_scc0 .LBB7_638
; %bb.636:
	global_load_ushort v3, v[0:1], off
	s_mov_b64 s[0:1], -1
	s_mov_b64 s[2:3], 0
	s_waitcnt vmcnt(0)
	v_lshlrev_b32_e32 v3, 16, v3
	v_cvt_f64_f32_e32 v[3:4], v3
	s_branch .LBB7_639
.LBB7_637:
	s_mov_b64 s[8:9], -1
                                        ; implicit-def: $vgpr3_vgpr4
	s_branch .LBB7_640
.LBB7_638:
	s_mov_b64 s[2:3], -1
                                        ; implicit-def: $vgpr3_vgpr4
.LBB7_639:
	s_mov_b64 s[8:9], 0
.LBB7_640:
	s_and_b64 vcc, exec, s[8:9]
	s_cbranch_vccz .LBB7_644
; %bb.641:
	s_cmp_eq_u32 s12, 11
	s_cbranch_scc0 .LBB7_643
; %bb.642:
	global_load_ubyte v4, v[0:1], off
	v_mov_b32_e32 v5, 0x3ff00000
	s_waitcnt vmcnt(1)
	v_mov_b32_e32 v3, 0
	s_mov_b64 s[0:1], -1
	s_mov_b64 s[2:3], 0
	s_waitcnt vmcnt(0)
	v_cmp_ne_u16_e32 vcc, 0, v4
	v_cndmask_b32_e32 v4, 0, v5, vcc
	s_branch .LBB7_644
.LBB7_643:
	s_mov_b64 s[2:3], -1
                                        ; implicit-def: $vgpr3_vgpr4
.LBB7_644:
	s_mov_b64 s[8:9], 0
.LBB7_645:
	s_and_b64 vcc, exec, s[8:9]
	s_cbranch_vccz .LBB7_694
; %bb.646:
	s_cmp_lt_i32 s12, 5
	s_cbranch_scc1 .LBB7_651
; %bb.647:
	s_cmp_lt_i32 s12, 8
	s_cbranch_scc1 .LBB7_652
	;; [unrolled: 3-line block ×3, first 2 shown]
; %bb.649:
	s_cmp_gt_i32 s12, 9
	s_cbranch_scc0 .LBB7_654
; %bb.650:
	global_load_dwordx2 v[3:4], v[0:1], off
	s_mov_b64 s[0:1], 0
	s_branch .LBB7_655
.LBB7_651:
	s_mov_b64 s[0:1], -1
                                        ; implicit-def: $vgpr3_vgpr4
	s_branch .LBB7_673
.LBB7_652:
	s_mov_b64 s[0:1], -1
                                        ; implicit-def: $vgpr3_vgpr4
	s_branch .LBB7_661
.LBB7_653:
	s_mov_b64 s[0:1], -1
                                        ; implicit-def: $vgpr3_vgpr4
	s_branch .LBB7_658
.LBB7_654:
	s_mov_b64 s[0:1], -1
                                        ; implicit-def: $vgpr3_vgpr4
.LBB7_655:
	s_andn2_b64 vcc, exec, s[0:1]
	s_cbranch_vccnz .LBB7_657
; %bb.656:
	global_load_dword v3, v[0:1], off
	s_waitcnt vmcnt(0)
	v_cvt_f64_f32_e32 v[3:4], v3
.LBB7_657:
	s_mov_b64 s[0:1], 0
.LBB7_658:
	s_andn2_b64 vcc, exec, s[0:1]
	s_cbranch_vccnz .LBB7_660
; %bb.659:
	global_load_dword v3, v[0:1], off
	s_waitcnt vmcnt(0)
	v_cvt_f32_f16_e32 v3, v3
	v_cvt_f64_f32_e32 v[3:4], v3
.LBB7_660:
	s_mov_b64 s[0:1], 0
.LBB7_661:
	s_andn2_b64 vcc, exec, s[0:1]
	s_cbranch_vccnz .LBB7_672
; %bb.662:
	s_cmp_lt_i32 s12, 6
	s_cbranch_scc1 .LBB7_665
; %bb.663:
	s_cmp_gt_i32 s12, 6
	s_cbranch_scc0 .LBB7_666
; %bb.664:
	global_load_dwordx2 v[3:4], v[0:1], off
	s_mov_b64 s[0:1], 0
	s_branch .LBB7_667
.LBB7_665:
	s_mov_b64 s[0:1], -1
                                        ; implicit-def: $vgpr3_vgpr4
	s_branch .LBB7_670
.LBB7_666:
	s_mov_b64 s[0:1], -1
                                        ; implicit-def: $vgpr3_vgpr4
.LBB7_667:
	s_andn2_b64 vcc, exec, s[0:1]
	s_cbranch_vccnz .LBB7_669
; %bb.668:
	global_load_dword v3, v[0:1], off
	s_waitcnt vmcnt(0)
	v_cvt_f64_f32_e32 v[3:4], v3
.LBB7_669:
	s_mov_b64 s[0:1], 0
.LBB7_670:
	s_andn2_b64 vcc, exec, s[0:1]
	s_cbranch_vccnz .LBB7_672
; %bb.671:
	global_load_ushort v3, v[0:1], off
	s_waitcnt vmcnt(0)
	v_cvt_f32_f16_e32 v3, v3
	v_cvt_f64_f32_e32 v[3:4], v3
.LBB7_672:
	s_mov_b64 s[0:1], 0
.LBB7_673:
	s_andn2_b64 vcc, exec, s[0:1]
	s_cbranch_vccnz .LBB7_693
; %bb.674:
	s_cmp_lt_i32 s12, 2
	s_cbranch_scc1 .LBB7_678
; %bb.675:
	s_cmp_lt_i32 s12, 3
	s_cbranch_scc1 .LBB7_679
; %bb.676:
	s_cmp_gt_i32 s12, 3
	s_cbranch_scc0 .LBB7_680
; %bb.677:
	global_load_dwordx2 v[3:4], v[0:1], off
	s_mov_b64 s[0:1], 0
	s_waitcnt vmcnt(0)
	v_cvt_f64_i32_e32 v[4:5], v4
	v_cvt_f64_u32_e32 v[6:7], v3
	v_ldexp_f64 v[4:5], v[4:5], 32
	v_add_f64 v[3:4], v[4:5], v[6:7]
	s_branch .LBB7_681
.LBB7_678:
	s_mov_b64 s[0:1], -1
                                        ; implicit-def: $vgpr3_vgpr4
	s_branch .LBB7_687
.LBB7_679:
	s_mov_b64 s[0:1], -1
                                        ; implicit-def: $vgpr3_vgpr4
	s_branch .LBB7_684
.LBB7_680:
	s_mov_b64 s[0:1], -1
                                        ; implicit-def: $vgpr3_vgpr4
.LBB7_681:
	s_andn2_b64 vcc, exec, s[0:1]
	s_cbranch_vccnz .LBB7_683
; %bb.682:
	global_load_dword v3, v[0:1], off
	s_waitcnt vmcnt(0)
	v_cvt_f64_i32_e32 v[3:4], v3
.LBB7_683:
	s_mov_b64 s[0:1], 0
.LBB7_684:
	s_andn2_b64 vcc, exec, s[0:1]
	s_cbranch_vccnz .LBB7_686
; %bb.685:
	global_load_sshort v3, v[0:1], off
	s_waitcnt vmcnt(0)
	v_cvt_f64_i32_e32 v[3:4], v3
.LBB7_686:
	s_mov_b64 s[0:1], 0
.LBB7_687:
	s_andn2_b64 vcc, exec, s[0:1]
	s_cbranch_vccnz .LBB7_693
; %bb.688:
	s_cmp_gt_i32 s12, 0
	s_cbranch_scc0 .LBB7_690
; %bb.689:
	global_load_sbyte v3, v[0:1], off
	s_mov_b64 s[0:1], 0
	s_waitcnt vmcnt(0)
	v_cvt_f64_i32_e32 v[3:4], v3
	s_branch .LBB7_691
.LBB7_690:
	s_mov_b64 s[0:1], -1
                                        ; implicit-def: $vgpr3_vgpr4
.LBB7_691:
	s_andn2_b64 vcc, exec, s[0:1]
	s_cbranch_vccnz .LBB7_693
; %bb.692:
	global_load_ubyte v0, v[0:1], off
	s_waitcnt vmcnt(0)
	v_cvt_f64_u32_e32 v[3:4], v0
.LBB7_693:
	s_mov_b64 s[0:1], -1
.LBB7_694:
	s_andn2_b64 vcc, exec, s[0:1]
	s_cbranch_vccnz .LBB7_704
; %bb.695:
	s_waitcnt vmcnt(0)
	v_cmp_lt_f64_e32 vcc, s[44:45], v[3:4]
	v_mov_b32_e32 v0, 0
	v_mov_b32_e32 v1, 0x3ff00000
	s_and_saveexec_b64 s[0:1], vcc
	s_cbranch_execz .LBB7_697
; %bb.696:
	s_mov_b32 s8, 0x9abcaf48
	s_mov_b32 s9, 0x3e7ad7f2
	v_add_f64 v[0:1], v[3:4], s[8:9]
	v_div_scale_f64 v[3:4], s[8:9], v[0:1], v[0:1], s[44:45]
	v_div_scale_f64 v[11:12], vcc, s[44:45], v[0:1], s[44:45]
	v_rcp_f64_e32 v[5:6], v[3:4]
	v_fma_f64 v[7:8], -v[3:4], v[5:6], 1.0
	v_fma_f64 v[5:6], v[5:6], v[7:8], v[5:6]
	v_fma_f64 v[7:8], -v[3:4], v[5:6], 1.0
	v_fma_f64 v[5:6], v[5:6], v[7:8], v[5:6]
	v_mul_f64 v[7:8], v[11:12], v[5:6]
	v_fma_f64 v[3:4], -v[3:4], v[7:8], v[11:12]
	v_div_fmas_f64 v[3:4], v[3:4], v[5:6], v[7:8]
	v_div_fixup_f64 v[0:1], v[3:4], v[0:1], s[44:45]
.LBB7_697:
	s_or_b64 exec, exec, s[0:1]
	v_mov_b32_e32 v3, s25
	s_and_b32 s14, s75, 0xff
	v_add_co_u32_e32 v4, vcc, s24, v2
	s_cmp_lt_i32 s14, 11
	v_addc_co_u32_e32 v5, vcc, 0, v3, vcc
	s_cbranch_scc1 .LBB7_705
; %bb.698:
	s_and_b32 s15, 0xffff, s14
	s_cmp_gt_i32 s15, 25
	s_cbranch_scc0 .LBB7_706
; %bb.699:
	s_cmp_gt_i32 s15, 28
	s_cbranch_scc0 .LBB7_707
; %bb.700:
	;; [unrolled: 3-line block ×4, first 2 shown]
	s_mov_b64 s[10:11], 0
	s_mov_b64 s[0:1], -1
	s_cmp_eq_u32 s15, 46
	s_mov_b64 s[8:9], 0
	s_cbranch_scc0 .LBB7_710
; %bb.703:
	v_cvt_f32_f64_e32 v2, v[0:1]
	s_movk_i32 s0, 0x7fff
	v_mov_b32_e32 v3, 0x7fc0
	s_mov_b64 s[8:9], -1
	v_bfe_u32 v6, v2, 16, 1
	v_cmp_o_f32_e32 vcc, v2, v2
	v_add3_u32 v2, v2, v6, s0
	v_cndmask_b32_sdwa v2, v3, v2, vcc dst_sel:DWORD dst_unused:UNUSED_PAD src0_sel:DWORD src1_sel:WORD_1
	global_store_dword v[4:5], v2, off
	s_mov_b64 s[0:1], 0
	s_branch .LBB7_710
.LBB7_704:
	s_mov_b64 s[8:9], 0
	s_mov_b64 s[0:1], s[62:63]
	s_branch .LBB7_821
.LBB7_705:
	s_mov_b64 s[10:11], -1
	s_mov_b64 s[8:9], 0
	s_mov_b64 s[0:1], s[62:63]
	s_branch .LBB7_779
.LBB7_706:
	s_mov_b64 s[10:11], -1
	s_mov_b64 s[8:9], 0
	s_mov_b64 s[0:1], s[62:63]
	s_branch .LBB7_737
.LBB7_707:
	s_mov_b64 s[10:11], -1
	s_mov_b64 s[8:9], 0
	s_mov_b64 s[0:1], s[62:63]
	s_branch .LBB7_720
.LBB7_708:
	s_mov_b64 s[10:11], -1
	s_mov_b64 s[8:9], 0
	s_mov_b64 s[0:1], s[62:63]
	s_branch .LBB7_716
.LBB7_709:
	s_mov_b64 s[10:11], -1
	s_mov_b64 s[8:9], 0
	s_mov_b64 s[0:1], s[62:63]
.LBB7_710:
	s_and_b64 vcc, exec, s[10:11]
	s_cbranch_vccz .LBB7_715
; %bb.711:
	s_cmp_eq_u32 s15, 44
	s_mov_b64 s[0:1], -1
	s_cbranch_scc0 .LBB7_715
; %bb.712:
	v_cvt_f32_f64_e32 v2, v[0:1]
	s_movk_i32 s0, 0xff
	v_mov_b32_e32 v6, 0xff
	v_bfe_u32 v3, v2, 23, 8
	v_cmp_ne_u32_e32 vcc, s0, v3
	s_and_saveexec_b64 s[8:9], vcc
; %bb.713:
	s_mov_b32 s0, 0x3fffff
	v_lshrrev_b32_e32 v6, 23, v2
	v_and_b32_e32 v7, 0x400000, v2
	v_and_or_b32 v2, v2, s0, v3
	v_cmp_ne_u32_e32 vcc, 0, v7
	v_cmp_ne_u32_e64 s[0:1], 0, v2
	s_and_b64 s[0:1], vcc, s[0:1]
	v_cndmask_b32_e64 v2, 0, 1, s[0:1]
	v_add_u32_e32 v6, v6, v2
; %bb.714:
	s_or_b64 exec, exec, s[8:9]
	s_mov_b64 s[8:9], -1
	s_mov_b64 s[0:1], 0
	global_store_byte v[4:5], v6, off
.LBB7_715:
	s_mov_b64 s[10:11], 0
.LBB7_716:
	s_and_b64 vcc, exec, s[10:11]
	s_cbranch_vccz .LBB7_719
; %bb.717:
	s_cmp_eq_u32 s15, 29
	s_mov_b64 s[0:1], -1
	s_cbranch_scc0 .LBB7_719
; %bb.718:
	v_trunc_f64_e32 v[2:3], v[0:1]
	s_movk_i32 s0, 0xffe0
	s_mov_b64 s[8:9], -1
	s_mov_b64 s[10:11], 0
	v_ldexp_f64 v[6:7], v[2:3], s0
	s_mov_b32 s0, 0
	s_mov_b32 s1, 0xc1f00000
	v_floor_f64_e32 v[6:7], v[6:7]
	v_fma_f64 v[2:3], v[6:7], s[0:1], v[2:3]
	v_cvt_u32_f64_e32 v7, v[6:7]
	s_mov_b64 s[0:1], 0
	v_cvt_u32_f64_e32 v6, v[2:3]
	global_store_dwordx2 v[4:5], v[6:7], off
	s_branch .LBB7_720
.LBB7_719:
	s_mov_b64 s[10:11], 0
.LBB7_720:
	s_and_b64 vcc, exec, s[10:11]
	s_cbranch_vccz .LBB7_736
; %bb.721:
	s_cmp_lt_i32 s15, 27
	s_mov_b64 s[8:9], -1
	s_cbranch_scc1 .LBB7_727
; %bb.722:
	v_cvt_u32_f64_e32 v2, v[0:1]
	s_cmp_gt_i32 s15, 27
	s_cbranch_scc0 .LBB7_724
; %bb.723:
	s_mov_b64 s[8:9], 0
	global_store_dword v[4:5], v2, off
.LBB7_724:
	s_andn2_b64 vcc, exec, s[8:9]
	s_cbranch_vccnz .LBB7_726
; %bb.725:
	global_store_short v[4:5], v2, off
.LBB7_726:
	s_mov_b64 s[8:9], 0
.LBB7_727:
	s_andn2_b64 vcc, exec, s[8:9]
	s_cbranch_vccnz .LBB7_735
; %bb.728:
	v_cvt_f32_f64_e32 v2, v[0:1]
	s_mov_b32 s8, 0x43800000
	v_mov_b32_e32 v6, 0x80
	v_and_b32_e32 v3, 0x7fffffff, v2
	v_cmp_gt_u32_e32 vcc, s8, v3
	s_and_saveexec_b64 s[8:9], vcc
	s_cbranch_execz .LBB7_734
; %bb.729:
	s_mov_b32 s10, 0x3bffffff
	v_cmp_lt_u32_e32 vcc, s10, v3
	s_mov_b64 s[10:11], 0
                                        ; implicit-def: $vgpr3
	s_and_saveexec_b64 s[12:13], vcc
	s_xor_b64 s[12:13], exec, s[12:13]
	s_cbranch_execz .LBB7_851
; %bb.730:
	v_bfe_u32 v3, v2, 20, 1
	s_mov_b32 s16, 0x487ffff
	v_add3_u32 v3, v2, v3, s16
	s_mov_b64 s[10:11], exec
	v_lshrrev_b32_e32 v3, 20, v3
	s_andn2_saveexec_b64 s[12:13], s[12:13]
	s_cbranch_execnz .LBB7_852
.LBB7_731:
	s_or_b64 exec, exec, s[12:13]
	v_mov_b32_e32 v6, 0
	s_and_saveexec_b64 s[12:13], s[10:11]
.LBB7_732:
	v_lshrrev_b32_e32 v2, 24, v2
	s_movk_i32 s10, 0x80
	v_and_or_b32 v6, v2, s10, v3
.LBB7_733:
	s_or_b64 exec, exec, s[12:13]
.LBB7_734:
	s_or_b64 exec, exec, s[8:9]
	global_store_byte v[4:5], v6, off
.LBB7_735:
	s_mov_b64 s[8:9], -1
.LBB7_736:
	s_mov_b64 s[10:11], 0
.LBB7_737:
	s_and_b64 vcc, exec, s[10:11]
	s_cbranch_vccz .LBB7_778
; %bb.738:
	s_cmp_gt_i32 s15, 22
	s_mov_b64 s[10:11], -1
	s_cbranch_scc0 .LBB7_770
; %bb.739:
	s_cmp_lt_i32 s15, 24
	s_mov_b64 s[8:9], -1
	s_cbranch_scc1 .LBB7_759
; %bb.740:
	s_cmp_gt_i32 s15, 24
	s_cbranch_scc0 .LBB7_748
; %bb.741:
	v_cvt_f32_f64_e32 v2, v[0:1]
	s_mov_b32 s8, 0x47800000
	v_mov_b32_e32 v6, 0x80
	v_and_b32_e32 v3, 0x7fffffff, v2
	v_cmp_gt_u32_e32 vcc, s8, v3
	s_and_saveexec_b64 s[8:9], vcc
	s_cbranch_execz .LBB7_747
; %bb.742:
	s_mov_b32 s10, 0x37ffffff
	v_cmp_lt_u32_e32 vcc, s10, v3
	s_mov_b64 s[10:11], 0
                                        ; implicit-def: $vgpr3
	s_and_saveexec_b64 s[12:13], vcc
	s_xor_b64 s[12:13], exec, s[12:13]
	s_cbranch_execz .LBB7_854
; %bb.743:
	v_bfe_u32 v3, v2, 21, 1
	s_mov_b32 s16, 0x88fffff
	v_add3_u32 v3, v2, v3, s16
	s_mov_b64 s[10:11], exec
	v_lshrrev_b32_e32 v3, 21, v3
	s_andn2_saveexec_b64 s[12:13], s[12:13]
	s_cbranch_execnz .LBB7_855
.LBB7_744:
	s_or_b64 exec, exec, s[12:13]
	v_mov_b32_e32 v6, 0
	s_and_saveexec_b64 s[12:13], s[10:11]
.LBB7_745:
	v_lshrrev_b32_e32 v2, 24, v2
	s_movk_i32 s10, 0x80
	v_and_or_b32 v6, v2, s10, v3
.LBB7_746:
	s_or_b64 exec, exec, s[12:13]
.LBB7_747:
	s_or_b64 exec, exec, s[8:9]
	s_mov_b64 s[8:9], 0
	global_store_byte v[4:5], v6, off
.LBB7_748:
	s_and_b64 vcc, exec, s[8:9]
	s_cbranch_vccz .LBB7_758
; %bb.749:
	v_cvt_f32_f64_e32 v2, v[0:1]
	s_mov_b32 s8, 0x43f00000
                                        ; implicit-def: $vgpr3
	v_and_b32_e32 v6, 0x7fffffff, v2
	v_cmp_gt_u32_e32 vcc, s8, v6
	s_and_saveexec_b64 s[8:9], vcc
	s_xor_b64 s[8:9], exec, s[8:9]
	s_cbranch_execz .LBB7_755
; %bb.750:
	s_mov_b32 s10, 0x3c7fffff
	v_cmp_lt_u32_e32 vcc, s10, v6
                                        ; implicit-def: $vgpr3
	s_and_saveexec_b64 s[10:11], vcc
	s_xor_b64 s[10:11], exec, s[10:11]
; %bb.751:
	v_bfe_u32 v3, v2, 20, 1
	s_mov_b32 s12, 0x407ffff
	v_add3_u32 v3, v2, v3, s12
	v_lshrrev_b32_e32 v6, 20, v3
	v_and_b32_e32 v3, 0xff00000, v3
	s_mov_b32 s12, 0x7f00000
	v_mov_b32_e32 v7, 0x7e
	v_cmp_ne_u32_e32 vcc, s12, v3
	v_cndmask_b32_e32 v3, v7, v6, vcc
; %bb.752:
	s_andn2_saveexec_b64 s[10:11], s[10:11]
; %bb.753:
	s_mov_b32 s12, 0x46800000
	v_add_f32_e64 v3, |v2|, s12
; %bb.754:
	s_or_b64 exec, exec, s[10:11]
                                        ; implicit-def: $vgpr6
.LBB7_755:
	s_andn2_saveexec_b64 s[8:9], s[8:9]
; %bb.756:
	s_mov_b32 s10, 0x7f800000
	v_mov_b32_e32 v3, 0x7e
	v_mov_b32_e32 v7, 0x7f
	v_cmp_lt_u32_e32 vcc, s10, v6
	v_cndmask_b32_e32 v3, v3, v7, vcc
; %bb.757:
	s_or_b64 exec, exec, s[8:9]
	v_lshrrev_b32_e32 v2, 24, v2
	s_movk_i32 s8, 0x80
	v_and_or_b32 v2, v2, s8, v3
	global_store_byte v[4:5], v2, off
.LBB7_758:
	s_mov_b64 s[8:9], 0
.LBB7_759:
	s_andn2_b64 vcc, exec, s[8:9]
	s_cbranch_vccnz .LBB7_769
; %bb.760:
	v_cvt_f32_f64_e32 v2, v[0:1]
	s_mov_b32 s8, 0x47800000
                                        ; implicit-def: $vgpr3
	v_and_b32_e32 v6, 0x7fffffff, v2
	v_cmp_gt_u32_e32 vcc, s8, v6
	s_and_saveexec_b64 s[8:9], vcc
	s_xor_b64 s[8:9], exec, s[8:9]
	s_cbranch_execz .LBB7_766
; %bb.761:
	s_mov_b32 s10, 0x387fffff
	v_cmp_lt_u32_e32 vcc, s10, v6
                                        ; implicit-def: $vgpr3
	s_and_saveexec_b64 s[10:11], vcc
	s_xor_b64 s[10:11], exec, s[10:11]
; %bb.762:
	v_bfe_u32 v3, v2, 21, 1
	s_mov_b32 s12, 0x80fffff
	v_add3_u32 v3, v2, v3, s12
	v_lshrrev_b32_e32 v3, 21, v3
; %bb.763:
	s_andn2_saveexec_b64 s[10:11], s[10:11]
; %bb.764:
	s_mov_b32 s12, 0x43000000
	v_add_f32_e64 v3, |v2|, s12
; %bb.765:
	s_or_b64 exec, exec, s[10:11]
                                        ; implicit-def: $vgpr6
.LBB7_766:
	s_andn2_saveexec_b64 s[8:9], s[8:9]
; %bb.767:
	s_mov_b32 s10, 0x7f800000
	v_mov_b32_e32 v3, 0x7c
	v_mov_b32_e32 v7, 0x7f
	v_cmp_lt_u32_e32 vcc, s10, v6
	v_cndmask_b32_e32 v3, v3, v7, vcc
; %bb.768:
	s_or_b64 exec, exec, s[8:9]
	v_lshrrev_b32_e32 v2, 24, v2
	s_movk_i32 s8, 0x80
	v_and_or_b32 v2, v2, s8, v3
	global_store_byte v[4:5], v2, off
.LBB7_769:
	s_mov_b64 s[10:11], 0
	s_mov_b64 s[8:9], -1
.LBB7_770:
	s_andn2_b64 vcc, exec, s[10:11]
	s_cbranch_vccnz .LBB7_778
; %bb.771:
	s_cmp_gt_i32 s15, 14
	s_mov_b64 s[10:11], -1
	s_cbranch_scc0 .LBB7_775
; %bb.772:
	s_cmp_eq_u32 s15, 15
	s_mov_b64 s[0:1], -1
	s_cbranch_scc0 .LBB7_774
; %bb.773:
	v_cvt_f32_f64_e32 v2, v[0:1]
	s_movk_i32 s0, 0x7fff
	v_mov_b32_e32 v3, 0x7fc0
	s_mov_b64 s[8:9], -1
	v_bfe_u32 v6, v2, 16, 1
	v_cmp_o_f32_e32 vcc, v2, v2
	v_add3_u32 v2, v2, v6, s0
	v_cndmask_b32_sdwa v2, v3, v2, vcc dst_sel:DWORD dst_unused:UNUSED_PAD src0_sel:DWORD src1_sel:WORD_1
	global_store_short v[4:5], v2, off
	s_mov_b64 s[0:1], 0
.LBB7_774:
	s_mov_b64 s[10:11], 0
.LBB7_775:
	s_and_b64 vcc, exec, s[10:11]
	s_cbranch_vccz .LBB7_778
; %bb.776:
	s_cmp_eq_u32 s15, 11
	s_mov_b64 s[0:1], -1
	s_cbranch_scc0 .LBB7_778
; %bb.777:
	v_cmp_neq_f64_e32 vcc, 0, v[0:1]
	s_mov_b64 s[0:1], 0
	s_mov_b64 s[8:9], -1
	v_cndmask_b32_e64 v2, 0, 1, vcc
	global_store_byte v[4:5], v2, off
.LBB7_778:
	s_mov_b64 s[10:11], 0
.LBB7_779:
	s_and_b64 vcc, exec, s[10:11]
	s_cbranch_vccz .LBB7_818
; %bb.780:
	s_and_b32 s10, 0xffff, s14
	s_cmp_lt_i32 s10, 5
	s_mov_b64 s[8:9], -1
	s_cbranch_scc1 .LBB7_801
; %bb.781:
	s_cmp_lt_i32 s10, 8
	s_cbranch_scc1 .LBB7_791
; %bb.782:
	s_cmp_lt_i32 s10, 9
	s_cbranch_scc1 .LBB7_788
; %bb.783:
	s_cmp_gt_i32 s10, 9
	s_cbranch_scc0 .LBB7_785
; %bb.784:
	v_mov_b32_e32 v2, 0
	v_mov_b32_e32 v3, v2
	s_mov_b64 s[8:9], 0
	global_store_dwordx4 v[4:5], v[0:3], off
.LBB7_785:
	s_andn2_b64 vcc, exec, s[8:9]
	s_cbranch_vccnz .LBB7_787
; %bb.786:
	v_cvt_f32_f64_e32 v2, v[0:1]
	v_mov_b32_e32 v3, 0
	global_store_dwordx2 v[4:5], v[2:3], off
.LBB7_787:
	s_mov_b64 s[8:9], 0
.LBB7_788:
	s_andn2_b64 vcc, exec, s[8:9]
	s_cbranch_vccnz .LBB7_790
; %bb.789:
	s_movk_i32 s8, 0x1ff
	v_and_or_b32 v2, v1, s8, v0
	v_cmp_ne_u32_e32 vcc, 0, v2
	v_cndmask_b32_e64 v2, 0, 1, vcc
	v_lshrrev_b32_e32 v3, 8, v1
	s_movk_i32 s8, 0xffe
	v_bfe_u32 v6, v1, 20, 11
	v_and_or_b32 v2, v3, s8, v2
	v_sub_u32_e32 v7, 0x3f1, v6
	v_or_b32_e32 v3, 0x1000, v2
	v_med3_i32 v7, v7, 0, 13
	v_lshrrev_b32_e32 v8, v7, v3
	v_lshlrev_b32_e32 v7, v7, v8
	v_cmp_ne_u32_e32 vcc, v7, v3
	v_cndmask_b32_e64 v3, 0, 1, vcc
	v_add_u32_e32 v6, 0xfffffc10, v6
	v_or_b32_e32 v3, v8, v3
	v_lshl_or_b32 v7, v6, 12, v2
	v_cmp_gt_i32_e32 vcc, 1, v6
	v_cndmask_b32_e32 v3, v7, v3, vcc
	v_and_b32_e32 v7, 7, v3
	v_cmp_lt_i32_e32 vcc, 5, v7
	v_cndmask_b32_e64 v8, 0, 1, vcc
	v_cmp_eq_u32_e32 vcc, 3, v7
	v_cndmask_b32_e64 v7, 0, 1, vcc
	v_or_b32_e32 v7, v7, v8
	v_lshrrev_b32_e32 v3, 2, v3
	v_add_u32_e32 v3, v3, v7
	v_mov_b32_e32 v7, 0x7c00
	v_cmp_gt_i32_e32 vcc, 31, v6
	v_cndmask_b32_e32 v3, v7, v3, vcc
	v_mov_b32_e32 v8, 0x7e00
	v_cmp_ne_u32_e32 vcc, 0, v2
	s_movk_i32 s8, 0x40f
	v_cndmask_b32_e32 v2, v7, v8, vcc
	v_cmp_eq_u32_e32 vcc, s8, v6
	v_cndmask_b32_e32 v2, v3, v2, vcc
	v_lshrrev_b32_e32 v3, 16, v1
	s_mov_b32 s8, 0x8000
	v_and_or_b32 v2, v3, s8, v2
	v_and_b32_e32 v2, 0xffff, v2
	global_store_dword v[4:5], v2, off
.LBB7_790:
	s_mov_b64 s[8:9], 0
.LBB7_791:
	s_andn2_b64 vcc, exec, s[8:9]
	s_cbranch_vccnz .LBB7_800
; %bb.792:
	s_cmp_lt_i32 s10, 6
	s_mov_b64 s[8:9], -1
	s_cbranch_scc1 .LBB7_798
; %bb.793:
	s_cmp_gt_i32 s10, 6
	s_cbranch_scc0 .LBB7_795
; %bb.794:
	s_mov_b64 s[8:9], 0
	global_store_dwordx2 v[4:5], v[0:1], off
.LBB7_795:
	s_andn2_b64 vcc, exec, s[8:9]
	s_cbranch_vccnz .LBB7_797
; %bb.796:
	v_cvt_f32_f64_e32 v2, v[0:1]
	global_store_dword v[4:5], v2, off
.LBB7_797:
	s_mov_b64 s[8:9], 0
.LBB7_798:
	s_andn2_b64 vcc, exec, s[8:9]
	s_cbranch_vccnz .LBB7_800
; %bb.799:
	s_movk_i32 s8, 0x1ff
	v_and_or_b32 v2, v1, s8, v0
	v_cmp_ne_u32_e32 vcc, 0, v2
	v_cndmask_b32_e64 v2, 0, 1, vcc
	v_lshrrev_b32_e32 v3, 8, v1
	s_movk_i32 s8, 0xffe
	v_bfe_u32 v6, v1, 20, 11
	v_and_or_b32 v2, v3, s8, v2
	v_sub_u32_e32 v7, 0x3f1, v6
	v_or_b32_e32 v3, 0x1000, v2
	v_med3_i32 v7, v7, 0, 13
	v_lshrrev_b32_e32 v8, v7, v3
	v_lshlrev_b32_e32 v7, v7, v8
	v_cmp_ne_u32_e32 vcc, v7, v3
	v_cndmask_b32_e64 v3, 0, 1, vcc
	v_add_u32_e32 v6, 0xfffffc10, v6
	v_or_b32_e32 v3, v8, v3
	v_lshl_or_b32 v7, v6, 12, v2
	v_cmp_gt_i32_e32 vcc, 1, v6
	v_cndmask_b32_e32 v3, v7, v3, vcc
	v_and_b32_e32 v7, 7, v3
	v_cmp_lt_i32_e32 vcc, 5, v7
	v_cndmask_b32_e64 v8, 0, 1, vcc
	v_cmp_eq_u32_e32 vcc, 3, v7
	v_cndmask_b32_e64 v7, 0, 1, vcc
	v_or_b32_e32 v7, v7, v8
	v_lshrrev_b32_e32 v3, 2, v3
	v_add_u32_e32 v3, v3, v7
	v_mov_b32_e32 v7, 0x7c00
	v_cmp_gt_i32_e32 vcc, 31, v6
	v_cndmask_b32_e32 v3, v7, v3, vcc
	v_mov_b32_e32 v8, 0x7e00
	v_cmp_ne_u32_e32 vcc, 0, v2
	s_movk_i32 s8, 0x40f
	v_cndmask_b32_e32 v2, v7, v8, vcc
	v_cmp_eq_u32_e32 vcc, s8, v6
	v_cndmask_b32_e32 v2, v3, v2, vcc
	v_lshrrev_b32_e32 v3, 16, v1
	s_mov_b32 s8, 0x8000
	v_and_or_b32 v2, v3, s8, v2
	global_store_short v[4:5], v2, off
.LBB7_800:
	s_mov_b64 s[8:9], 0
.LBB7_801:
	s_andn2_b64 vcc, exec, s[8:9]
	s_cbranch_vccnz .LBB7_817
; %bb.802:
	s_cmp_lt_i32 s10, 2
	s_mov_b64 s[8:9], -1
	s_cbranch_scc1 .LBB7_812
; %bb.803:
	s_cmp_lt_i32 s10, 3
	s_cbranch_scc1 .LBB7_809
; %bb.804:
	s_cmp_gt_i32 s10, 3
	s_cbranch_scc0 .LBB7_806
; %bb.805:
	v_trunc_f64_e32 v[2:3], v[0:1]
	s_movk_i32 s8, 0xffe0
	v_ldexp_f64 v[6:7], v[2:3], s8
	s_mov_b32 s8, 0
	s_mov_b32 s9, 0xc1f00000
	v_floor_f64_e32 v[6:7], v[6:7]
	v_fma_f64 v[2:3], v[6:7], s[8:9], v[2:3]
	v_cvt_i32_f64_e32 v7, v[6:7]
	s_mov_b64 s[8:9], 0
	v_cvt_u32_f64_e32 v6, v[2:3]
	global_store_dwordx2 v[4:5], v[6:7], off
.LBB7_806:
	s_andn2_b64 vcc, exec, s[8:9]
	s_cbranch_vccnz .LBB7_808
; %bb.807:
	v_cvt_i32_f64_e32 v2, v[0:1]
	global_store_dword v[4:5], v2, off
.LBB7_808:
	s_mov_b64 s[8:9], 0
.LBB7_809:
	s_andn2_b64 vcc, exec, s[8:9]
	s_cbranch_vccnz .LBB7_811
; %bb.810:
	v_cvt_i32_f64_e32 v2, v[0:1]
	global_store_short v[4:5], v2, off
.LBB7_811:
	s_mov_b64 s[8:9], 0
.LBB7_812:
	s_andn2_b64 vcc, exec, s[8:9]
	s_cbranch_vccnz .LBB7_817
; %bb.813:
	s_cmp_gt_i32 s10, 0
	s_mov_b64 s[8:9], -1
	s_cbranch_scc0 .LBB7_815
; %bb.814:
	v_cvt_i32_f64_e32 v2, v[0:1]
	s_mov_b64 s[8:9], 0
	global_store_byte v[4:5], v2, off
.LBB7_815:
	s_andn2_b64 vcc, exec, s[8:9]
	s_cbranch_vccnz .LBB7_817
; %bb.816:
	v_trunc_f64_e32 v[0:1], v[0:1]
	s_movk_i32 s8, 0xffe0
	v_ldexp_f64 v[2:3], v[0:1], s8
	s_mov_b32 s8, 0
	s_mov_b32 s9, 0xc1f00000
	v_floor_f64_e32 v[2:3], v[2:3]
	v_fma_f64 v[0:1], v[2:3], s[8:9], v[0:1]
	v_cvt_u32_f64_e32 v0, v[0:1]
	global_store_byte v[4:5], v0, off
.LBB7_817:
	s_mov_b64 s[8:9], -1
.LBB7_818:
	s_andn2_b64 vcc, exec, s[8:9]
	s_cbranch_vccnz .LBB7_820
; %bb.819:
	v_add_u32_e32 v10, 0x80, v10
	s_mov_b64 s[8:9], -1
	s_branch .LBB7_822
.LBB7_820:
	s_mov_b64 s[8:9], 0
.LBB7_821:
                                        ; implicit-def: $vgpr10
.LBB7_822:
	s_andn2_b64 s[10:11], s[62:63], exec
	s_and_b64 s[0:1], s[0:1], exec
	s_or_b64 s[70:71], s[10:11], s[0:1]
	s_andn2_b64 s[0:1], s[60:61], exec
	s_and_b64 s[2:3], s[2:3], exec
	s_or_b64 s[68:69], s[0:1], s[2:3]
	s_orn2_b64 s[2:3], s[8:9], exec
.LBB7_823:
	s_or_b64 exec, exec, s[66:67]
	s_mov_b64 s[0:1], 0
	s_mov_b64 s[8:9], 0
	;; [unrolled: 1-line block ×3, first 2 shown]
                                        ; implicit-def: $vgpr0_vgpr1
                                        ; implicit-def: $vgpr2
                                        ; implicit-def: $vgpr6_vgpr7
	s_and_saveexec_b64 s[66:67], s[2:3]
	s_cbranch_execz .LBB7_922
; %bb.824:
	v_cmp_gt_i32_e32 vcc, s72, v10
	s_mov_b64 s[2:3], 0
	s_mov_b64 s[12:13], s[68:69]
                                        ; implicit-def: $vgpr0_vgpr1
                                        ; implicit-def: $vgpr2
                                        ; implicit-def: $vgpr6_vgpr7
	s_and_saveexec_b64 s[72:73], vcc
	s_cbranch_execz .LBB7_921
; %bb.825:
	s_andn2_b64 vcc, exec, s[40:41]
	s_cbranch_vccnz .LBB7_830
; %bb.826:
	s_andn2_b64 vcc, exec, s[52:53]
	s_cbranch_vccnz .LBB7_831
; %bb.827:
	s_add_i32 s78, s77, 1
	s_cmp_eq_u32 s74, 2
	s_cbranch_scc1 .LBB7_832
; %bb.828:
	s_and_b32 s77, s78, 28
	v_mov_b32_e32 v0, 0
	s_mov_b32 s79, 0
	s_mov_b64 s[52:53], s[34:35]
	v_mov_b32_e32 v2, 0
	v_mov_b32_e32 v1, v10
.LBB7_829:                              ; =>This Inner Loop Header: Depth=1
	s_load_dwordx8 s[16:23], s[52:53], 0x4
	s_load_dwordx4 s[0:3], s[52:53], 0x24
	s_load_dwordx8 s[8:15], s[50:51], 0x0
	s_add_u32 s52, s52, 48
	s_addc_u32 s53, s53, 0
	s_waitcnt vmcnt(0) lgkmcnt(0)
	v_mul_hi_u32 v3, s17, v1
	s_add_i32 s79, s79, 4
	s_add_u32 s50, s50, 32
	s_addc_u32 s51, s51, 0
	v_add_u32_e32 v3, v1, v3
	v_lshrrev_b32_e32 v3, s18, v3
	v_mul_lo_u32 v4, v3, s16
	v_mul_hi_u32 v5, s20, v3
	s_cmp_eq_u32 s77, s79
	v_sub_u32_e32 v1, v1, v4
	v_add_u32_e32 v4, v3, v5
	v_mul_lo_u32 v5, v1, s8
	v_mul_lo_u32 v6, v1, s9
	v_lshrrev_b32_e32 v1, s21, v4
	v_mul_lo_u32 v4, v1, s19
	v_mul_hi_u32 v7, s23, v1
	v_sub_u32_e32 v3, v3, v4
	v_add_u32_e32 v4, v1, v7
	v_lshrrev_b32_e32 v4, s0, v4
	v_mul_hi_u32 v8, s2, v4
	v_mul_lo_u32 v9, v4, s22
	v_mul_lo_u32 v7, v3, s10
	;; [unrolled: 1-line block ×3, first 2 shown]
	v_sub_u32_e32 v9, v1, v9
	v_add_u32_e32 v1, v4, v8
	v_lshrrev_b32_e32 v1, s3, v1
	v_mul_lo_u32 v8, v1, s1
	v_mul_lo_u32 v11, v9, s12
	;; [unrolled: 1-line block ×3, first 2 shown]
	v_add3_u32 v2, v5, v2, v7
	v_sub_u32_e32 v4, v4, v8
	v_mul_lo_u32 v8, v4, s14
	v_mul_lo_u32 v4, v4, s15
	v_add3_u32 v0, v6, v0, v3
	v_add3_u32 v2, v11, v2, v8
	;; [unrolled: 1-line block ×3, first 2 shown]
	s_cbranch_scc0 .LBB7_829
	s_branch .LBB7_833
.LBB7_830:
	s_mov_b64 s[0:1], -1
                                        ; implicit-def: $vgpr2
                                        ; implicit-def: $vgpr0
	s_branch .LBB7_837
.LBB7_831:
	v_mov_b32_e32 v2, 0
	v_mov_b32_e32 v0, 0
	s_branch .LBB7_836
.LBB7_832:
	s_mov_b32 s77, 0
	v_mov_b32_e32 v2, 0
	v_mov_b32_e32 v0, 0
	;; [unrolled: 1-line block ×3, first 2 shown]
.LBB7_833:
	s_and_b32 s8, s78, 3
	s_cmp_eq_u32 s8, 0
	s_cbranch_scc1 .LBB7_836
; %bb.834:
	s_lshl_b32 s0, s77, 3
	s_add_u32 s0, s34, s0
	s_addc_u32 s1, s35, 0
	s_add_u32 s0, s0, 0xc4
	s_addc_u32 s1, s1, 0
	s_mul_i32 s2, s77, 12
	s_add_u32 s2, s34, s2
	s_addc_u32 s3, s35, 0
.LBB7_835:                              ; =>This Inner Loop Header: Depth=1
	s_load_dwordx2 s[10:11], s[2:3], 0x4
	s_load_dword s9, s[2:3], 0xc
	s_load_dwordx2 s[12:13], s[0:1], 0x0
	s_add_u32 s2, s2, 12
	s_addc_u32 s3, s3, 0
	s_waitcnt vmcnt(0) lgkmcnt(0)
	v_mul_hi_u32 v3, s11, v1
	s_add_u32 s0, s0, 8
	s_addc_u32 s1, s1, 0
	s_add_i32 s8, s8, -1
	v_add_u32_e32 v3, v1, v3
	v_lshrrev_b32_e32 v4, s9, v3
	v_mul_lo_u32 v3, v4, s10
	s_cmp_lg_u32 s8, 0
	v_sub_u32_e32 v1, v1, v3
	v_mad_u64_u32 v[2:3], s[10:11], v1, s12, v[2:3]
	v_mad_u64_u32 v[0:1], s[10:11], v1, s13, v[0:1]
	v_mov_b32_e32 v1, v4
	s_cbranch_scc1 .LBB7_835
.LBB7_836:
	s_mov_b64 s[0:1], 0
.LBB7_837:
	s_andn2_b64 vcc, exec, s[0:1]
	s_cbranch_vccnz .LBB7_840
; %bb.838:
	v_mul_hi_u32 v0, s29, v10
	s_andn2_b64 vcc, exec, s[48:49]
	v_add_u32_e32 v0, v10, v0
	v_lshrrev_b32_e32 v1, s30, v0
	v_mul_lo_u32 v0, v1, s28
	v_sub_u32_e32 v0, v10, v0
	v_mul_lo_u32 v2, v0, s36
	v_mul_lo_u32 v0, v0, s37
	s_cbranch_vccnz .LBB7_840
; %bb.839:
	s_waitcnt vmcnt(0)
	v_mul_hi_u32 v3, s46, v1
	v_add_u32_e32 v3, v1, v3
	v_lshrrev_b32_e32 v3, s47, v3
	v_mul_lo_u32 v3, v3, s31
	v_sub_u32_e32 v1, v1, v3
	v_mad_u64_u32 v[2:3], s[0:1], v1, s38, v[2:3]
	v_mad_u64_u32 v[0:1], s[0:1], v1, s39, v[0:1]
.LBB7_840:
	v_mov_b32_e32 v1, s27
	s_and_b32 s14, 0xffff, s76
	v_add_co_u32_e32 v0, vcc, s26, v0
	s_cmp_lt_i32 s14, 11
	v_addc_co_u32_e32 v1, vcc, 0, v1, vcc
	s_cbranch_scc1 .LBB7_847
; %bb.841:
	s_cmp_gt_i32 s14, 25
	s_mov_b64 s[2:3], 0
	s_cbranch_scc0 .LBB7_848
; %bb.842:
	s_cmp_gt_i32 s14, 28
	s_cbranch_scc0 .LBB7_849
; %bb.843:
	s_cmp_gt_i32 s14, 43
	;; [unrolled: 3-line block ×3, first 2 shown]
	s_cbranch_scc0 .LBB7_853
; %bb.845:
	s_cmp_eq_u32 s14, 46
	s_mov_b64 s[10:11], 0
	s_cbranch_scc0 .LBB7_856
; %bb.846:
	global_load_dword v3, v[0:1], off
	s_mov_b64 s[0:1], 0
	s_mov_b64 s[8:9], -1
	s_waitcnt vmcnt(0)
	v_lshlrev_b32_e32 v3, 16, v3
	v_cvt_f64_f32_e32 v[6:7], v3
	s_branch .LBB7_857
.LBB7_847:
	s_mov_b64 s[12:13], -1
	s_mov_b64 s[8:9], 0
	s_mov_b64 s[2:3], 0
	;; [unrolled: 1-line block ×3, first 2 shown]
                                        ; implicit-def: $vgpr6_vgpr7
	s_branch .LBB7_920
.LBB7_848:
	s_mov_b64 s[10:11], -1
	s_mov_b64 s[8:9], 0
	s_mov_b64 s[0:1], s[68:69]
                                        ; implicit-def: $vgpr6_vgpr7
	s_branch .LBB7_888
.LBB7_849:
	s_mov_b64 s[10:11], -1
	s_mov_b64 s[8:9], 0
	s_mov_b64 s[0:1], s[68:69]
                                        ; implicit-def: $vgpr6_vgpr7
	s_branch .LBB7_867
.LBB7_850:
	s_mov_b64 s[10:11], -1
	s_mov_b64 s[8:9], 0
	s_mov_b64 s[0:1], s[68:69]
                                        ; implicit-def: $vgpr6_vgpr7
	s_branch .LBB7_862
.LBB7_851:
	s_andn2_saveexec_b64 s[12:13], s[12:13]
	s_cbranch_execz .LBB7_731
.LBB7_852:
	s_mov_b32 s16, 0x46000000
	v_add_f32_e64 v3, |v2|, s16
	v_and_b32_e32 v3, 0xff, v3
	v_cmp_ne_u32_e32 vcc, 0, v3
	s_andn2_b64 s[10:11], s[10:11], exec
	s_and_b64 s[16:17], vcc, exec
	s_or_b64 s[10:11], s[10:11], s[16:17]
	s_or_b64 exec, exec, s[12:13]
	v_mov_b32_e32 v6, 0
	s_and_saveexec_b64 s[12:13], s[10:11]
	s_cbranch_execnz .LBB7_732
	s_branch .LBB7_733
.LBB7_853:
	s_mov_b64 s[10:11], -1
	s_mov_b64 s[8:9], 0
	s_mov_b64 s[0:1], s[68:69]
                                        ; implicit-def: $vgpr6_vgpr7
	s_branch .LBB7_857
.LBB7_854:
	s_andn2_saveexec_b64 s[12:13], s[12:13]
	s_cbranch_execz .LBB7_744
.LBB7_855:
	s_mov_b32 s16, 0x42800000
	v_add_f32_e64 v3, |v2|, s16
	v_and_b32_e32 v3, 0xff, v3
	v_cmp_ne_u32_e32 vcc, 0, v3
	s_andn2_b64 s[10:11], s[10:11], exec
	s_and_b64 s[16:17], vcc, exec
	s_or_b64 s[10:11], s[10:11], s[16:17]
	s_or_b64 exec, exec, s[12:13]
	v_mov_b32_e32 v6, 0
	s_and_saveexec_b64 s[12:13], s[10:11]
	s_cbranch_execnz .LBB7_745
	s_branch .LBB7_746
.LBB7_856:
	s_mov_b64 s[0:1], -1
                                        ; implicit-def: $vgpr6_vgpr7
	s_mov_b64 s[8:9], 0
.LBB7_857:
	s_and_b64 vcc, exec, s[10:11]
	s_cbranch_vccz .LBB7_861
; %bb.858:
	s_cmp_eq_u32 s14, 44
	s_cbranch_scc0 .LBB7_860
; %bb.859:
	global_load_ubyte v5, v[0:1], off
	s_movk_i32 s8, 0xff
	v_bfrev_b32_e32 v6, 4
	v_mov_b32_e32 v7, 0x7ff80000
	v_bfrev_b32_e32 v8, 28
	s_mov_b64 s[0:1], 0
	s_waitcnt vmcnt(0)
	v_lshlrev_b32_e32 v3, 23, v5
	v_cvt_f64_f32_e32 v[3:4], v3
	v_cmp_ne_u32_e32 vcc, s8, v5
	s_mov_b64 s[8:9], -1
	v_cndmask_b32_e32 v3, v6, v3, vcc
	v_cndmask_b32_e32 v4, v7, v4, vcc
	v_cmp_ne_u32_e32 vcc, 0, v5
	v_cndmask_b32_e32 v7, v8, v4, vcc
	v_cndmask_b32_e32 v6, 0, v3, vcc
	s_branch .LBB7_861
.LBB7_860:
	s_mov_b64 s[0:1], -1
                                        ; implicit-def: $vgpr6_vgpr7
.LBB7_861:
	s_mov_b64 s[10:11], 0
.LBB7_862:
	s_and_b64 vcc, exec, s[10:11]
	s_cbranch_vccz .LBB7_866
; %bb.863:
	s_cmp_eq_u32 s14, 29
	s_cbranch_scc0 .LBB7_865
; %bb.864:
	global_load_dwordx2 v[3:4], v[0:1], off
	s_mov_b64 s[0:1], 0
	s_mov_b64 s[8:9], -1
	s_mov_b64 s[10:11], 0
	s_waitcnt vmcnt(0)
	v_cvt_f64_u32_e32 v[4:5], v4
	v_cvt_f64_u32_e32 v[6:7], v3
	v_ldexp_f64 v[4:5], v[4:5], 32
	v_add_f64 v[6:7], v[4:5], v[6:7]
	s_branch .LBB7_867
.LBB7_865:
	s_mov_b64 s[0:1], -1
                                        ; implicit-def: $vgpr6_vgpr7
.LBB7_866:
	s_mov_b64 s[10:11], 0
.LBB7_867:
	s_and_b64 vcc, exec, s[10:11]
	s_cbranch_vccz .LBB7_887
; %bb.868:
	s_cmp_lt_i32 s14, 27
	s_cbranch_scc1 .LBB7_871
; %bb.869:
	s_cmp_gt_i32 s14, 27
	s_cbranch_scc0 .LBB7_872
; %bb.870:
	global_load_dword v3, v[0:1], off
	s_mov_b64 s[8:9], 0
	s_waitcnt vmcnt(0)
	v_cvt_f64_u32_e32 v[6:7], v3
	s_branch .LBB7_873
.LBB7_871:
	s_mov_b64 s[8:9], -1
                                        ; implicit-def: $vgpr6_vgpr7
	s_branch .LBB7_876
.LBB7_872:
	s_mov_b64 s[8:9], -1
                                        ; implicit-def: $vgpr6_vgpr7
.LBB7_873:
	s_andn2_b64 vcc, exec, s[8:9]
	s_cbranch_vccnz .LBB7_875
; %bb.874:
	global_load_ushort v3, v[0:1], off
	s_waitcnt vmcnt(0)
	v_cvt_f64_u32_e32 v[6:7], v3
.LBB7_875:
	s_mov_b64 s[8:9], 0
.LBB7_876:
	s_andn2_b64 vcc, exec, s[8:9]
	s_cbranch_vccnz .LBB7_886
; %bb.877:
	global_load_ubyte v3, v[0:1], off
	s_movk_i32 s8, 0x7f
	s_waitcnt vmcnt(0)
	v_cmp_lt_i16_e32 vcc, s8, v3
	s_mov_b64 s[8:9], 0
	s_and_saveexec_b64 s[10:11], vcc
	s_xor_b64 s[10:11], exec, s[10:11]
	s_cbranch_execz .LBB7_881
; %bb.878:
	s_movk_i32 s8, 0x80
	v_cmp_eq_u16_e32 vcc, s8, v3
	s_mov_b64 s[8:9], -1
	s_and_saveexec_b64 s[12:13], vcc
; %bb.879:
	s_xor_b64 s[8:9], exec, -1
; %bb.880:
	s_or_b64 exec, exec, s[12:13]
	s_and_b64 s[8:9], s[8:9], exec
.LBB7_881:
	s_or_saveexec_b64 s[10:11], s[10:11]
	v_bfrev_b32_e32 v6, 4
	v_mov_b32_e32 v7, 0x7ff80000
	s_xor_b64 exec, exec, s[10:11]
; %bb.882:
	v_cmp_ne_u16_e32 vcc, 0, v3
	v_mov_b32_e32 v6, 0
	s_andn2_b64 s[8:9], s[8:9], exec
	s_and_b64 s[12:13], vcc, exec
	v_mov_b32_e32 v7, 0
	s_or_b64 s[8:9], s[8:9], s[12:13]
; %bb.883:
	s_or_b64 exec, exec, s[10:11]
	s_and_saveexec_b64 s[10:11], s[8:9]
	s_cbranch_execz .LBB7_885
; %bb.884:
	v_lshlrev_b32_e32 v4, 24, v3
	v_and_b32_e32 v3, 0xffff, v3
	v_and_b32_e32 v5, 7, v3
	v_ffbh_u32_e32 v7, v5
	v_min_u32_e32 v7, 32, v7
	v_subrev_u32_e32 v8, 28, v7
	v_bfe_u32 v6, v3, 3, 4
	v_lshlrev_b32_e32 v3, v8, v3
	v_sub_u32_e32 v7, 29, v7
	v_and_b32_e32 v3, 7, v3
	v_cmp_eq_u32_e32 vcc, 0, v6
	v_cndmask_b32_e32 v6, v6, v7, vcc
	v_cndmask_b32_e32 v3, v5, v3, vcc
	v_mov_b32_e32 v5, 0x3b800000
	v_lshlrev_b32_e32 v3, 20, v3
	v_and_b32_e32 v4, 0x80000000, v4
	v_lshl_add_u32 v5, v6, 23, v5
	v_or3_b32 v3, v4, v5, v3
	v_cvt_f64_f32_e32 v[6:7], v3
.LBB7_885:
	s_or_b64 exec, exec, s[10:11]
.LBB7_886:
	s_mov_b64 s[8:9], -1
.LBB7_887:
	s_mov_b64 s[10:11], 0
.LBB7_888:
	s_and_b64 vcc, exec, s[10:11]
	s_cbranch_vccz .LBB7_919
; %bb.889:
	s_cmp_gt_i32 s14, 22
	s_cbranch_scc0 .LBB7_901
; %bb.890:
	s_cmp_lt_i32 s14, 24
	s_cbranch_scc1 .LBB7_902
; %bb.891:
	s_cmp_gt_i32 s14, 24
	s_cbranch_scc0 .LBB7_903
; %bb.892:
	global_load_ubyte v3, v[0:1], off
	s_movk_i32 s2, 0x7f
	s_waitcnt vmcnt(0)
	v_cmp_lt_i16_e32 vcc, s2, v3
	s_mov_b64 s[2:3], 0
	s_and_saveexec_b64 s[8:9], vcc
	s_xor_b64 s[8:9], exec, s[8:9]
	s_cbranch_execz .LBB7_896
; %bb.893:
	s_movk_i32 s2, 0x80
	v_cmp_eq_u16_e32 vcc, s2, v3
	s_mov_b64 s[2:3], -1
	s_and_saveexec_b64 s[10:11], vcc
; %bb.894:
	s_xor_b64 s[2:3], exec, -1
; %bb.895:
	s_or_b64 exec, exec, s[10:11]
	s_and_b64 s[2:3], s[2:3], exec
.LBB7_896:
	s_or_saveexec_b64 s[8:9], s[8:9]
	v_bfrev_b32_e32 v6, 4
	v_mov_b32_e32 v7, 0x7ff80000
	s_xor_b64 exec, exec, s[8:9]
; %bb.897:
	v_cmp_ne_u16_e32 vcc, 0, v3
	v_mov_b32_e32 v6, 0
	s_andn2_b64 s[2:3], s[2:3], exec
	s_and_b64 s[10:11], vcc, exec
	v_mov_b32_e32 v7, 0
	s_or_b64 s[2:3], s[2:3], s[10:11]
; %bb.898:
	s_or_b64 exec, exec, s[8:9]
	s_and_saveexec_b64 s[8:9], s[2:3]
	s_cbranch_execz .LBB7_900
; %bb.899:
	v_lshlrev_b32_e32 v4, 24, v3
	v_and_b32_e32 v3, 0xffff, v3
	v_and_b32_e32 v5, 3, v3
	v_ffbh_u32_e32 v7, v5
	v_min_u32_e32 v7, 32, v7
	v_subrev_u32_e32 v8, 29, v7
	v_bfe_u32 v6, v3, 2, 5
	v_lshlrev_b32_e32 v3, v8, v3
	v_sub_u32_e32 v7, 30, v7
	v_and_b32_e32 v3, 3, v3
	v_cmp_eq_u32_e32 vcc, 0, v6
	v_cndmask_b32_e32 v6, v6, v7, vcc
	v_cndmask_b32_e32 v3, v5, v3, vcc
	v_mov_b32_e32 v5, 0x37800000
	v_lshlrev_b32_e32 v3, 21, v3
	v_and_b32_e32 v4, 0x80000000, v4
	v_lshl_add_u32 v5, v6, 23, v5
	v_or3_b32 v3, v4, v5, v3
	v_cvt_f64_f32_e32 v[6:7], v3
.LBB7_900:
	s_or_b64 exec, exec, s[8:9]
	s_mov_b64 s[2:3], 0
	s_branch .LBB7_904
.LBB7_901:
	s_mov_b64 s[2:3], -1
                                        ; implicit-def: $vgpr6_vgpr7
	s_branch .LBB7_910
.LBB7_902:
	s_mov_b64 s[2:3], -1
                                        ; implicit-def: $vgpr6_vgpr7
	s_branch .LBB7_907
.LBB7_903:
	s_mov_b64 s[2:3], -1
                                        ; implicit-def: $vgpr6_vgpr7
.LBB7_904:
	s_and_b64 vcc, exec, s[2:3]
	s_cbranch_vccz .LBB7_906
; %bb.905:
	global_load_ubyte v3, v[0:1], off
	s_mov_b32 s2, 0x7f800000
	s_waitcnt vmcnt(0)
	v_lshlrev_b32_e32 v3, 24, v3
	v_and_b32_e32 v4, 0x7f000000, v3
	v_ffbh_u32_e32 v5, v4
	v_min_u32_e32 v5, 32, v5
	v_sub_u32_e64 v5, v5, 4 clamp
	v_lshlrev_b32_e32 v7, v5, v4
	v_lshlrev_b32_e32 v5, 23, v5
	v_lshrrev_b32_e32 v7, 4, v7
	v_add_u32_e32 v6, 0x1000000, v4
	v_sub_u32_e32 v5, v7, v5
	v_ashrrev_i32_e32 v6, 8, v6
	v_add_u32_e32 v5, 0x3c000000, v5
	v_and_or_b32 v5, v6, s2, v5
	v_cmp_ne_u32_e32 vcc, 0, v4
	v_cndmask_b32_e32 v4, 0, v5, vcc
	s_brev_b32 s2, 1
	v_and_or_b32 v3, v3, s2, v4
	v_cvt_f64_f32_e32 v[6:7], v3
.LBB7_906:
	s_mov_b64 s[2:3], 0
.LBB7_907:
	s_andn2_b64 vcc, exec, s[2:3]
	s_cbranch_vccnz .LBB7_909
; %bb.908:
	global_load_ubyte v3, v[0:1], off
	s_movk_i32 s2, 0x7f00
	s_brev_b32 s3, 16
	s_waitcnt vmcnt(0)
	v_lshlrev_b16_e32 v4, 8, v3
	v_lshlrev_b32_e32 v3, 25, v3
	v_lshrrev_b32_e32 v5, 4, v3
	v_and_or_b32 v6, v4, s2, 0.5
	v_or_b32_e32 v5, 0x70000000, v5
	v_add_f32_e32 v6, -0.5, v6
	v_mul_f32_e32 v5, 0x7800000, v5
	v_cmp_gt_u32_e32 vcc, s3, v3
	v_bfe_i32 v4, v4, 0, 16
	v_cndmask_b32_e32 v3, v5, v6, vcc
	s_brev_b32 s2, 1
	v_and_or_b32 v3, v4, s2, v3
	v_cvt_f64_f32_e32 v[6:7], v3
.LBB7_909:
	s_mov_b64 s[2:3], 0
	s_mov_b64 s[8:9], -1
.LBB7_910:
	s_andn2_b64 vcc, exec, s[2:3]
	s_mov_b64 s[2:3], 0
	s_cbranch_vccnz .LBB7_919
; %bb.911:
	s_cmp_gt_i32 s14, 14
	s_cbranch_scc0 .LBB7_914
; %bb.912:
	s_cmp_eq_u32 s14, 15
	s_cbranch_scc0 .LBB7_915
; %bb.913:
	global_load_ushort v3, v[0:1], off
	s_mov_b64 s[0:1], 0
	s_mov_b64 s[8:9], -1
	s_waitcnt vmcnt(0)
	v_lshlrev_b32_e32 v3, 16, v3
	v_cvt_f64_f32_e32 v[6:7], v3
	s_branch .LBB7_916
.LBB7_914:
	s_mov_b64 s[10:11], -1
                                        ; implicit-def: $vgpr6_vgpr7
	s_branch .LBB7_917
.LBB7_915:
	s_mov_b64 s[0:1], -1
                                        ; implicit-def: $vgpr6_vgpr7
.LBB7_916:
	s_mov_b64 s[10:11], 0
.LBB7_917:
	s_and_b64 vcc, exec, s[10:11]
	s_cbranch_vccz .LBB7_919
; %bb.918:
	s_cmp_lg_u32 s14, 11
	s_cselect_b64 s[10:11], -1, 0
	s_andn2_b64 s[0:1], s[0:1], exec
	s_and_b64 s[10:11], s[10:11], exec
	s_mov_b64 s[2:3], -1
	s_or_b64 s[0:1], s[0:1], s[10:11]
.LBB7_919:
	s_mov_b64 s[12:13], 0
.LBB7_920:
	s_and_b64 s[10:11], s[8:9], exec
	s_and_b64 s[8:9], s[12:13], exec
	s_andn2_b64 s[12:13], s[68:69], exec
	s_and_b64 s[0:1], s[0:1], exec
	s_and_b64 s[2:3], s[2:3], exec
	s_or_b64 s[12:13], s[12:13], s[0:1]
.LBB7_921:
	s_or_b64 exec, exec, s[72:73]
	s_and_b64 s[0:1], s[2:3], exec
	s_andn2_b64 s[2:3], s[68:69], exec
	s_and_b64 s[12:13], s[12:13], exec
	s_and_b64 s[10:11], s[10:11], exec
	;; [unrolled: 1-line block ×3, first 2 shown]
	s_or_b64 s[68:69], s[2:3], s[12:13]
.LBB7_922:
	s_or_b64 exec, exec, s[66:67]
	s_andn2_b64 s[2:3], s[62:63], exec
	s_and_b64 s[12:13], s[70:71], exec
	s_or_b64 s[62:63], s[2:3], s[12:13]
	s_and_b64 s[2:3], s[0:1], exec
	s_andn2_b64 s[0:1], s[60:61], exec
	s_and_b64 s[12:13], s[68:69], exec
	s_and_b64 s[10:11], s[10:11], exec
	;; [unrolled: 1-line block ×3, first 2 shown]
	s_or_b64 s[60:61], s[0:1], s[12:13]
.LBB7_923:
	s_or_b64 exec, exec, s[64:65]
	s_andn2_b64 s[0:1], s[54:55], exec
	s_and_b64 s[12:13], s[62:63], exec
	s_or_b64 s[54:55], s[0:1], s[12:13]
	s_and_b64 s[0:1], s[10:11], exec
	s_and_b64 s[10:11], s[8:9], exec
	;; [unrolled: 1-line block ×3, first 2 shown]
	s_andn2_b64 s[2:3], s[56:57], exec
	s_and_b64 s[8:9], s[60:61], exec
	s_or_b64 s[56:57], s[2:3], s[8:9]
	s_or_b64 exec, exec, s[58:59]
	s_mov_b64 s[2:3], 0
	s_and_saveexec_b64 s[8:9], s[56:57]
	s_cbranch_execz .LBB7_276
.LBB7_924:
	s_mov_b64 s[2:3], exec
	s_andn2_b64 s[62:63], s[62:63], exec
	s_trap 2
	s_or_b64 exec, exec, s[8:9]
	s_and_saveexec_b64 s[8:9], s[62:63]
	s_xor_b64 s[8:9], exec, s[8:9]
	s_cbranch_execnz .LBB7_277
.LBB7_925:
	s_or_b64 exec, exec, s[8:9]
	s_and_saveexec_b64 s[8:9], s[10:11]
	s_cbranch_execz .LBB7_971
.LBB7_926:
	s_sext_i32_i16 s10, s76
	s_cmp_lt_i32 s10, 5
	s_cbranch_scc1 .LBB7_931
; %bb.927:
	s_cmp_lt_i32 s10, 8
	s_cbranch_scc1 .LBB7_932
; %bb.928:
	;; [unrolled: 3-line block ×3, first 2 shown]
	s_cmp_gt_i32 s10, 9
	s_cbranch_scc0 .LBB7_934
; %bb.930:
	global_load_dwordx2 v[6:7], v[0:1], off
	s_mov_b64 s[10:11], 0
	s_branch .LBB7_935
.LBB7_931:
                                        ; implicit-def: $vgpr6_vgpr7
	s_branch .LBB7_952
.LBB7_932:
                                        ; implicit-def: $vgpr6_vgpr7
	s_branch .LBB7_941
.LBB7_933:
	s_mov_b64 s[10:11], -1
                                        ; implicit-def: $vgpr6_vgpr7
	s_branch .LBB7_938
.LBB7_934:
	s_mov_b64 s[10:11], -1
                                        ; implicit-def: $vgpr6_vgpr7
.LBB7_935:
	s_andn2_b64 vcc, exec, s[10:11]
	s_cbranch_vccnz .LBB7_937
; %bb.936:
	global_load_dword v3, v[0:1], off
	s_waitcnt vmcnt(0)
	v_cvt_f64_f32_e32 v[6:7], v3
.LBB7_937:
	s_mov_b64 s[10:11], 0
.LBB7_938:
	s_andn2_b64 vcc, exec, s[10:11]
	s_cbranch_vccnz .LBB7_940
; %bb.939:
	global_load_dword v3, v[0:1], off
	s_waitcnt vmcnt(0)
	v_cvt_f32_f16_e32 v3, v3
	v_cvt_f64_f32_e32 v[6:7], v3
.LBB7_940:
	s_cbranch_execnz .LBB7_951
.LBB7_941:
	s_sext_i32_i16 s10, s76
	s_cmp_lt_i32 s10, 6
	s_cbranch_scc1 .LBB7_944
; %bb.942:
	s_cmp_gt_i32 s10, 6
	s_cbranch_scc0 .LBB7_945
; %bb.943:
	global_load_dwordx2 v[6:7], v[0:1], off
	s_mov_b64 s[10:11], 0
	s_branch .LBB7_946
.LBB7_944:
	s_mov_b64 s[10:11], -1
                                        ; implicit-def: $vgpr6_vgpr7
	s_branch .LBB7_949
.LBB7_945:
	s_mov_b64 s[10:11], -1
                                        ; implicit-def: $vgpr6_vgpr7
.LBB7_946:
	s_andn2_b64 vcc, exec, s[10:11]
	s_cbranch_vccnz .LBB7_948
; %bb.947:
	global_load_dword v3, v[0:1], off
	s_waitcnt vmcnt(0)
	v_cvt_f64_f32_e32 v[6:7], v3
.LBB7_948:
	s_mov_b64 s[10:11], 0
.LBB7_949:
	s_andn2_b64 vcc, exec, s[10:11]
	s_cbranch_vccnz .LBB7_951
; %bb.950:
	global_load_ushort v3, v[0:1], off
	s_waitcnt vmcnt(0)
	v_cvt_f32_f16_e32 v3, v3
	v_cvt_f64_f32_e32 v[6:7], v3
.LBB7_951:
	s_cbranch_execnz .LBB7_970
.LBB7_952:
	s_sext_i32_i16 s10, s76
	s_cmp_lt_i32 s10, 2
	s_cbranch_scc1 .LBB7_956
; %bb.953:
	s_cmp_lt_i32 s10, 3
	s_cbranch_scc1 .LBB7_957
; %bb.954:
	s_cmp_gt_i32 s10, 3
	s_cbranch_scc0 .LBB7_958
; %bb.955:
	global_load_dwordx2 v[3:4], v[0:1], off
	s_mov_b64 s[10:11], 0
	s_waitcnt vmcnt(0)
	v_cvt_f64_i32_e32 v[4:5], v4
	v_cvt_f64_u32_e32 v[6:7], v3
	v_ldexp_f64 v[4:5], v[4:5], 32
	v_add_f64 v[6:7], v[4:5], v[6:7]
	s_branch .LBB7_959
.LBB7_956:
                                        ; implicit-def: $vgpr6_vgpr7
	s_branch .LBB7_965
.LBB7_957:
	s_mov_b64 s[10:11], -1
                                        ; implicit-def: $vgpr6_vgpr7
	s_branch .LBB7_962
.LBB7_958:
	s_mov_b64 s[10:11], -1
                                        ; implicit-def: $vgpr6_vgpr7
.LBB7_959:
	s_andn2_b64 vcc, exec, s[10:11]
	s_cbranch_vccnz .LBB7_961
; %bb.960:
	global_load_dword v3, v[0:1], off
	s_waitcnt vmcnt(0)
	v_cvt_f64_i32_e32 v[6:7], v3
.LBB7_961:
	s_mov_b64 s[10:11], 0
.LBB7_962:
	s_andn2_b64 vcc, exec, s[10:11]
	s_cbranch_vccnz .LBB7_964
; %bb.963:
	global_load_sshort v3, v[0:1], off
	s_waitcnt vmcnt(0)
	v_cvt_f64_i32_e32 v[6:7], v3
.LBB7_964:
	s_cbranch_execnz .LBB7_970
.LBB7_965:
	s_sext_i32_i16 s10, s76
	s_cmp_gt_i32 s10, 0
	s_cbranch_scc0 .LBB7_967
; %bb.966:
	global_load_sbyte v3, v[0:1], off
	s_mov_b64 s[10:11], 0
	s_waitcnt vmcnt(0)
	v_cvt_f64_i32_e32 v[6:7], v3
	s_branch .LBB7_968
.LBB7_967:
	s_mov_b64 s[10:11], -1
                                        ; implicit-def: $vgpr6_vgpr7
.LBB7_968:
	s_andn2_b64 vcc, exec, s[10:11]
	s_cbranch_vccnz .LBB7_970
; %bb.969:
	global_load_ubyte v0, v[0:1], off
	s_waitcnt vmcnt(0)
	v_cvt_f64_u32_e32 v[6:7], v0
.LBB7_970:
	s_or_b64 s[0:1], s[0:1], exec
.LBB7_971:
	s_or_b64 exec, exec, s[8:9]
	s_mov_b64 s[12:13], 0
	s_mov_b64 s[10:11], 0
                                        ; implicit-def: $sgpr18
                                        ; implicit-def: $vgpr4_vgpr5
                                        ; implicit-def: $vgpr0_vgpr1
	s_and_saveexec_b64 s[8:9], s[0:1]
	s_cbranch_execz .LBB7_981
; %bb.972:
	s_waitcnt vmcnt(0)
	v_cmp_lt_f64_e32 vcc, s[44:45], v[6:7]
	v_mov_b32_e32 v0, 0
	v_mov_b32_e32 v1, 0x3ff00000
	s_and_saveexec_b64 s[0:1], vcc
	s_cbranch_execz .LBB7_974
; %bb.973:
	s_mov_b32 s10, 0x9abcaf48
	s_mov_b32 s11, 0x3e7ad7f2
	v_add_f64 v[0:1], v[6:7], s[10:11]
	v_div_scale_f64 v[3:4], s[10:11], v[0:1], v[0:1], s[44:45]
	v_div_scale_f64 v[9:10], vcc, s[44:45], v[0:1], s[44:45]
	v_rcp_f64_e32 v[5:6], v[3:4]
	v_fma_f64 v[7:8], -v[3:4], v[5:6], 1.0
	v_fma_f64 v[5:6], v[5:6], v[7:8], v[5:6]
	v_fma_f64 v[7:8], -v[3:4], v[5:6], 1.0
	v_fma_f64 v[5:6], v[5:6], v[7:8], v[5:6]
	v_mul_f64 v[7:8], v[9:10], v[5:6]
	v_fma_f64 v[3:4], -v[3:4], v[7:8], v[9:10]
	v_div_fmas_f64 v[3:4], v[3:4], v[5:6], v[7:8]
	v_div_fixup_f64 v[0:1], v[3:4], v[0:1], s[44:45]
.LBB7_974:
	s_or_b64 exec, exec, s[0:1]
	v_mov_b32_e32 v3, s25
	s_and_b32 s18, s75, 0xff
	v_add_co_u32_e32 v4, vcc, s24, v2
	s_cmp_lt_i32 s18, 11
	v_addc_co_u32_e32 v5, vcc, 0, v3, vcc
	s_cbranch_scc1 .LBB7_984
; %bb.975:
	s_and_b32 s19, 0xffff, s18
	s_mov_b64 s[12:13], -1
	s_cmp_gt_i32 s19, 25
	s_mov_b64 s[0:1], s[54:55]
	s_cbranch_scc0 .LBB7_1012
; %bb.976:
	s_mov_b64 s[10:11], -1
	s_cmp_gt_i32 s19, 28
	s_mov_b64 s[0:1], s[54:55]
	s_cbranch_scc0 .LBB7_996
; %bb.977:
	s_cmp_gt_i32 s19, 43
	s_mov_b64 s[0:1], s[54:55]
	s_cbranch_scc0 .LBB7_992
; %bb.978:
	;; [unrolled: 4-line block ×3, first 2 shown]
	s_cmp_eq_u32 s19, 46
	s_mov_b64 s[0:1], -1
	s_cbranch_scc0 .LBB7_985
; %bb.980:
	v_cvt_f32_f64_e32 v2, v[0:1]
	s_movk_i32 s0, 0x7fff
	v_mov_b32_e32 v3, 0x7fc0
	s_mov_b64 s[10:11], 0
	v_bfe_u32 v6, v2, 16, 1
	v_cmp_o_f32_e32 vcc, v2, v2
	v_add3_u32 v2, v2, v6, s0
	v_cndmask_b32_sdwa v2, v3, v2, vcc dst_sel:DWORD dst_unused:UNUSED_PAD src0_sel:DWORD src1_sel:WORD_1
	global_store_dword v[4:5], v2, off
	s_mov_b64 s[0:1], 0
	s_branch .LBB7_986
.LBB7_981:
	s_or_b64 exec, exec, s[8:9]
	s_and_saveexec_b64 s[0:1], s[54:55]
	s_cbranch_execnz .LBB7_1054
.LBB7_982:
	s_or_b64 exec, exec, s[0:1]
	s_and_saveexec_b64 s[0:1], s[12:13]
	s_xor_b64 s[0:1], exec, s[0:1]
	s_cbranch_execz .LBB7_1055
.LBB7_983:
	v_cmp_neq_f64_e32 vcc, 0, v[0:1]
	v_cndmask_b32_e64 v2, 0, 1, vcc
	s_waitcnt vmcnt(0)
	global_store_byte v[4:5], v2, off
	s_or_b64 exec, exec, s[0:1]
	s_and_saveexec_b64 s[0:1], s[10:11]
	s_xor_b64 s[0:1], exec, s[0:1]
	s_cbranch_execz .LBB7_1093
	s_branch .LBB7_1056
.LBB7_984:
	s_mov_b64 s[10:11], -1
	s_mov_b64 s[0:1], s[54:55]
	s_branch .LBB7_1053
.LBB7_985:
	s_mov_b64 s[10:11], 0
.LBB7_986:
	s_and_b64 vcc, exec, s[10:11]
	s_cbranch_vccz .LBB7_991
; %bb.987:
	s_cmp_eq_u32 s19, 44
	s_mov_b64 s[0:1], -1
	s_cbranch_scc0 .LBB7_991
; %bb.988:
	v_cvt_f32_f64_e32 v2, v[0:1]
	s_movk_i32 s0, 0xff
	v_mov_b32_e32 v6, 0xff
	v_bfe_u32 v3, v2, 23, 8
	v_cmp_ne_u32_e32 vcc, s0, v3
	s_and_saveexec_b64 s[10:11], vcc
; %bb.989:
	s_mov_b32 s0, 0x3fffff
	v_lshrrev_b32_e32 v6, 23, v2
	v_and_b32_e32 v7, 0x400000, v2
	v_and_or_b32 v2, v2, s0, v3
	v_cmp_ne_u32_e32 vcc, 0, v7
	v_cmp_ne_u32_e64 s[0:1], 0, v2
	s_and_b64 s[0:1], vcc, s[0:1]
	v_cndmask_b32_e64 v2, 0, 1, s[0:1]
	v_add_u32_e32 v6, v6, v2
; %bb.990:
	s_or_b64 exec, exec, s[10:11]
	s_mov_b64 s[0:1], 0
	global_store_byte v[4:5], v6, off
.LBB7_991:
	s_mov_b64 s[10:11], 0
.LBB7_992:
	s_and_b64 vcc, exec, s[10:11]
	s_cbranch_vccz .LBB7_995
; %bb.993:
	s_cmp_eq_u32 s19, 29
	s_mov_b64 s[0:1], -1
	s_cbranch_scc0 .LBB7_995
; %bb.994:
	v_trunc_f64_e32 v[2:3], v[0:1]
	s_movk_i32 s0, 0xffe0
	s_mov_b64 s[10:11], 0
	v_ldexp_f64 v[6:7], v[2:3], s0
	s_mov_b32 s0, 0
	s_mov_b32 s1, 0xc1f00000
	v_floor_f64_e32 v[6:7], v[6:7]
	v_fma_f64 v[2:3], v[6:7], s[0:1], v[2:3]
	v_cvt_u32_f64_e32 v7, v[6:7]
	s_mov_b64 s[0:1], 0
	v_cvt_u32_f64_e32 v6, v[2:3]
	global_store_dwordx2 v[4:5], v[6:7], off
	s_branch .LBB7_996
.LBB7_995:
	s_mov_b64 s[10:11], 0
.LBB7_996:
	s_and_b64 vcc, exec, s[10:11]
	s_cbranch_vccz .LBB7_1011
; %bb.997:
	s_cmp_lt_i32 s19, 27
	s_mov_b64 s[10:11], -1
	s_cbranch_scc1 .LBB7_1003
; %bb.998:
	s_cmp_gt_i32 s19, 27
	s_cbranch_scc0 .LBB7_1000
; %bb.999:
	v_cvt_u32_f64_e32 v2, v[0:1]
	s_mov_b64 s[10:11], 0
	global_store_dword v[4:5], v2, off
.LBB7_1000:
	s_andn2_b64 vcc, exec, s[10:11]
	s_cbranch_vccnz .LBB7_1002
; %bb.1001:
	v_cvt_u32_f64_e32 v2, v[0:1]
	global_store_short v[4:5], v2, off
.LBB7_1002:
	s_mov_b64 s[10:11], 0
.LBB7_1003:
	s_andn2_b64 vcc, exec, s[10:11]
	s_cbranch_vccnz .LBB7_1011
; %bb.1004:
	v_cvt_f32_f64_e32 v2, v[0:1]
	s_mov_b32 s10, 0x43800000
	v_mov_b32_e32 v6, 0x80
	v_and_b32_e32 v3, 0x7fffffff, v2
	v_cmp_gt_u32_e32 vcc, s10, v3
	s_and_saveexec_b64 s[10:11], vcc
	s_cbranch_execz .LBB7_1010
; %bb.1005:
	s_mov_b32 s12, 0x3bffffff
	v_cmp_lt_u32_e32 vcc, s12, v3
	s_mov_b64 s[12:13], 0
                                        ; implicit-def: $vgpr3
	s_and_saveexec_b64 s[14:15], vcc
	s_xor_b64 s[14:15], exec, s[14:15]
	s_cbranch_execz .LBB7_1164
; %bb.1006:
	v_bfe_u32 v3, v2, 20, 1
	s_mov_b32 s16, 0x487ffff
	v_add3_u32 v3, v2, v3, s16
	s_mov_b64 s[12:13], exec
	v_lshrrev_b32_e32 v3, 20, v3
	s_andn2_saveexec_b64 s[14:15], s[14:15]
	s_cbranch_execnz .LBB7_1165
.LBB7_1007:
	s_or_b64 exec, exec, s[14:15]
	v_mov_b32_e32 v6, 0
	s_and_saveexec_b64 s[14:15], s[12:13]
.LBB7_1008:
	v_lshrrev_b32_e32 v2, 24, v2
	s_movk_i32 s12, 0x80
	v_and_or_b32 v6, v2, s12, v3
.LBB7_1009:
	s_or_b64 exec, exec, s[14:15]
.LBB7_1010:
	s_or_b64 exec, exec, s[10:11]
	global_store_byte v[4:5], v6, off
.LBB7_1011:
	s_mov_b64 s[12:13], 0
.LBB7_1012:
	s_mov_b64 s[10:11], 0
	s_and_b64 vcc, exec, s[12:13]
	s_cbranch_vccz .LBB7_1052
; %bb.1013:
	s_cmp_gt_i32 s19, 22
	s_mov_b64 s[12:13], -1
	s_cbranch_scc0 .LBB7_1045
; %bb.1014:
	s_cmp_lt_i32 s19, 24
	s_cbranch_scc1 .LBB7_1034
; %bb.1015:
	s_cmp_gt_i32 s19, 24
	s_cbranch_scc0 .LBB7_1023
; %bb.1016:
	v_cvt_f32_f64_e32 v2, v[0:1]
	s_mov_b32 s12, 0x47800000
	v_mov_b32_e32 v6, 0x80
	v_and_b32_e32 v3, 0x7fffffff, v2
	v_cmp_gt_u32_e32 vcc, s12, v3
	s_and_saveexec_b64 s[12:13], vcc
	s_cbranch_execz .LBB7_1022
; %bb.1017:
	s_mov_b32 s14, 0x37ffffff
	v_cmp_lt_u32_e32 vcc, s14, v3
	s_mov_b64 s[14:15], 0
                                        ; implicit-def: $vgpr3
	s_and_saveexec_b64 s[16:17], vcc
	s_xor_b64 s[16:17], exec, s[16:17]
	s_cbranch_execz .LBB7_1291
; %bb.1018:
	v_bfe_u32 v3, v2, 21, 1
	s_mov_b32 s20, 0x88fffff
	v_add3_u32 v3, v2, v3, s20
	s_mov_b64 s[14:15], exec
	v_lshrrev_b32_e32 v3, 21, v3
	s_andn2_saveexec_b64 s[16:17], s[16:17]
	s_cbranch_execnz .LBB7_1292
.LBB7_1019:
	s_or_b64 exec, exec, s[16:17]
	v_mov_b32_e32 v6, 0
	s_and_saveexec_b64 s[16:17], s[14:15]
.LBB7_1020:
	v_lshrrev_b32_e32 v2, 24, v2
	s_movk_i32 s14, 0x80
	v_and_or_b32 v6, v2, s14, v3
.LBB7_1021:
	s_or_b64 exec, exec, s[16:17]
.LBB7_1022:
	s_or_b64 exec, exec, s[12:13]
	s_mov_b64 s[12:13], 0
	global_store_byte v[4:5], v6, off
.LBB7_1023:
	s_and_b64 vcc, exec, s[12:13]
	s_cbranch_vccz .LBB7_1033
; %bb.1024:
	v_cvt_f32_f64_e32 v2, v[0:1]
	s_mov_b32 s12, 0x43f00000
                                        ; implicit-def: $vgpr3
	v_and_b32_e32 v6, 0x7fffffff, v2
	v_cmp_gt_u32_e32 vcc, s12, v6
	s_and_saveexec_b64 s[12:13], vcc
	s_xor_b64 s[12:13], exec, s[12:13]
	s_cbranch_execz .LBB7_1030
; %bb.1025:
	s_mov_b32 s14, 0x3c7fffff
	v_cmp_lt_u32_e32 vcc, s14, v6
                                        ; implicit-def: $vgpr3
	s_and_saveexec_b64 s[14:15], vcc
	s_xor_b64 s[14:15], exec, s[14:15]
; %bb.1026:
	v_bfe_u32 v3, v2, 20, 1
	s_mov_b32 s16, 0x407ffff
	v_add3_u32 v3, v2, v3, s16
	v_lshrrev_b32_e32 v6, 20, v3
	v_and_b32_e32 v3, 0xff00000, v3
	s_mov_b32 s16, 0x7f00000
	v_mov_b32_e32 v7, 0x7e
	v_cmp_ne_u32_e32 vcc, s16, v3
	v_cndmask_b32_e32 v3, v7, v6, vcc
; %bb.1027:
	s_andn2_saveexec_b64 s[14:15], s[14:15]
; %bb.1028:
	s_mov_b32 s16, 0x46800000
	v_add_f32_e64 v3, |v2|, s16
; %bb.1029:
	s_or_b64 exec, exec, s[14:15]
                                        ; implicit-def: $vgpr6
.LBB7_1030:
	s_andn2_saveexec_b64 s[12:13], s[12:13]
; %bb.1031:
	s_mov_b32 s14, 0x7f800000
	v_mov_b32_e32 v3, 0x7e
	v_mov_b32_e32 v7, 0x7f
	v_cmp_lt_u32_e32 vcc, s14, v6
	v_cndmask_b32_e32 v3, v3, v7, vcc
; %bb.1032:
	s_or_b64 exec, exec, s[12:13]
	v_lshrrev_b32_e32 v2, 24, v2
	s_movk_i32 s12, 0x80
	v_and_or_b32 v2, v2, s12, v3
	global_store_byte v[4:5], v2, off
.LBB7_1033:
	s_mov_b64 s[12:13], 0
.LBB7_1034:
	s_andn2_b64 vcc, exec, s[12:13]
	s_cbranch_vccnz .LBB7_1044
; %bb.1035:
	v_cvt_f32_f64_e32 v2, v[0:1]
	s_mov_b32 s12, 0x47800000
                                        ; implicit-def: $vgpr3
	v_and_b32_e32 v6, 0x7fffffff, v2
	v_cmp_gt_u32_e32 vcc, s12, v6
	s_and_saveexec_b64 s[12:13], vcc
	s_xor_b64 s[12:13], exec, s[12:13]
	s_cbranch_execz .LBB7_1041
; %bb.1036:
	s_mov_b32 s14, 0x387fffff
	v_cmp_lt_u32_e32 vcc, s14, v6
                                        ; implicit-def: $vgpr3
	s_and_saveexec_b64 s[14:15], vcc
	s_xor_b64 s[14:15], exec, s[14:15]
; %bb.1037:
	v_bfe_u32 v3, v2, 21, 1
	s_mov_b32 s16, 0x80fffff
	v_add3_u32 v3, v2, v3, s16
	v_lshrrev_b32_e32 v3, 21, v3
; %bb.1038:
	s_andn2_saveexec_b64 s[14:15], s[14:15]
; %bb.1039:
	s_mov_b32 s16, 0x43000000
	v_add_f32_e64 v3, |v2|, s16
; %bb.1040:
	s_or_b64 exec, exec, s[14:15]
                                        ; implicit-def: $vgpr6
.LBB7_1041:
	s_andn2_saveexec_b64 s[12:13], s[12:13]
; %bb.1042:
	s_mov_b32 s14, 0x7f800000
	v_mov_b32_e32 v3, 0x7c
	v_mov_b32_e32 v7, 0x7f
	v_cmp_lt_u32_e32 vcc, s14, v6
	v_cndmask_b32_e32 v3, v3, v7, vcc
; %bb.1043:
	s_or_b64 exec, exec, s[12:13]
	v_lshrrev_b32_e32 v2, 24, v2
	s_movk_i32 s12, 0x80
	v_and_or_b32 v2, v2, s12, v3
	global_store_byte v[4:5], v2, off
.LBB7_1044:
	s_mov_b64 s[12:13], 0
.LBB7_1045:
	s_andn2_b64 vcc, exec, s[12:13]
	s_mov_b64 s[12:13], 0
	s_cbranch_vccnz .LBB7_1053
; %bb.1046:
	s_cmp_gt_i32 s19, 14
	s_mov_b64 s[14:15], -1
	s_cbranch_scc0 .LBB7_1050
; %bb.1047:
	s_cmp_eq_u32 s19, 15
	s_mov_b64 s[0:1], -1
	s_cbranch_scc0 .LBB7_1049
; %bb.1048:
	v_cvt_f32_f64_e32 v2, v[0:1]
	s_movk_i32 s0, 0x7fff
	v_mov_b32_e32 v3, 0x7fc0
	v_bfe_u32 v6, v2, 16, 1
	v_cmp_o_f32_e32 vcc, v2, v2
	v_add3_u32 v2, v2, v6, s0
	v_cndmask_b32_sdwa v2, v3, v2, vcc dst_sel:DWORD dst_unused:UNUSED_PAD src0_sel:DWORD src1_sel:WORD_1
	global_store_short v[4:5], v2, off
	s_mov_b64 s[0:1], 0
.LBB7_1049:
	s_mov_b64 s[14:15], 0
.LBB7_1050:
	s_and_b64 vcc, exec, s[14:15]
	s_cbranch_vccz .LBB7_1053
; %bb.1051:
	s_cmp_lg_u32 s19, 11
	s_cselect_b64 s[14:15], -1, 0
	s_andn2_b64 s[0:1], s[0:1], exec
	s_and_b64 s[14:15], s[14:15], exec
	s_mov_b64 s[12:13], -1
	s_or_b64 s[0:1], s[0:1], s[14:15]
	s_branch .LBB7_1053
.LBB7_1052:
	s_mov_b64 s[12:13], 0
.LBB7_1053:
	s_andn2_b64 s[14:15], s[54:55], exec
	s_and_b64 s[0:1], s[0:1], exec
	s_and_b64 s[10:11], s[10:11], exec
	;; [unrolled: 1-line block ×3, first 2 shown]
	s_or_b64 s[54:55], s[14:15], s[0:1]
	s_or_b64 exec, exec, s[8:9]
	s_and_saveexec_b64 s[0:1], s[54:55]
	s_cbranch_execz .LBB7_982
.LBB7_1054:
	s_or_b64 s[2:3], s[2:3], exec
	s_andn2_b64 s[12:13], s[12:13], exec
	s_trap 2
	s_or_b64 exec, exec, s[0:1]
	s_and_saveexec_b64 s[0:1], s[12:13]
	s_xor_b64 s[0:1], exec, s[0:1]
	s_cbranch_execnz .LBB7_983
.LBB7_1055:
	s_or_b64 exec, exec, s[0:1]
	s_and_saveexec_b64 s[0:1], s[10:11]
	s_xor_b64 s[0:1], exec, s[0:1]
	s_cbranch_execz .LBB7_1093
.LBB7_1056:
	s_sext_i32_i16 s10, s18
	s_cmp_lt_i32 s10, 5
	s_mov_b64 s[8:9], -1
	s_cbranch_scc1 .LBB7_1077
; %bb.1057:
	s_cmp_lt_i32 s10, 8
	s_cbranch_scc1 .LBB7_1067
; %bb.1058:
	s_cmp_lt_i32 s10, 9
	s_cbranch_scc1 .LBB7_1064
; %bb.1059:
	s_cmp_gt_i32 s10, 9
	s_cbranch_scc0 .LBB7_1061
; %bb.1060:
	v_mov_b32_e32 v2, 0
	s_waitcnt vmcnt(0)
	v_mov_b32_e32 v3, v2
	s_mov_b64 s[8:9], 0
	global_store_dwordx4 v[4:5], v[0:3], off
.LBB7_1061:
	s_andn2_b64 vcc, exec, s[8:9]
	s_cbranch_vccnz .LBB7_1063
; %bb.1062:
	v_cvt_f32_f64_e32 v2, v[0:1]
	s_waitcnt vmcnt(0)
	v_mov_b32_e32 v3, 0
	global_store_dwordx2 v[4:5], v[2:3], off
.LBB7_1063:
	s_mov_b64 s[8:9], 0
.LBB7_1064:
	s_andn2_b64 vcc, exec, s[8:9]
	s_cbranch_vccnz .LBB7_1066
; %bb.1065:
	s_movk_i32 s8, 0x1ff
	v_and_or_b32 v2, v1, s8, v0
	v_cmp_ne_u32_e32 vcc, 0, v2
	v_cndmask_b32_e64 v2, 0, 1, vcc
	s_waitcnt vmcnt(0)
	v_lshrrev_b32_e32 v3, 8, v1
	s_movk_i32 s8, 0xffe
	v_bfe_u32 v6, v1, 20, 11
	v_and_or_b32 v2, v3, s8, v2
	v_sub_u32_e32 v7, 0x3f1, v6
	v_or_b32_e32 v3, 0x1000, v2
	v_med3_i32 v7, v7, 0, 13
	v_lshrrev_b32_e32 v8, v7, v3
	v_lshlrev_b32_e32 v7, v7, v8
	v_cmp_ne_u32_e32 vcc, v7, v3
	v_cndmask_b32_e64 v3, 0, 1, vcc
	v_add_u32_e32 v6, 0xfffffc10, v6
	v_or_b32_e32 v3, v8, v3
	v_lshl_or_b32 v7, v6, 12, v2
	v_cmp_gt_i32_e32 vcc, 1, v6
	v_cndmask_b32_e32 v3, v7, v3, vcc
	v_and_b32_e32 v7, 7, v3
	v_cmp_lt_i32_e32 vcc, 5, v7
	v_cndmask_b32_e64 v8, 0, 1, vcc
	v_cmp_eq_u32_e32 vcc, 3, v7
	v_cndmask_b32_e64 v7, 0, 1, vcc
	v_or_b32_e32 v7, v7, v8
	v_lshrrev_b32_e32 v3, 2, v3
	v_add_u32_e32 v3, v3, v7
	v_mov_b32_e32 v7, 0x7c00
	v_cmp_gt_i32_e32 vcc, 31, v6
	v_cndmask_b32_e32 v3, v7, v3, vcc
	v_mov_b32_e32 v8, 0x7e00
	v_cmp_ne_u32_e32 vcc, 0, v2
	s_movk_i32 s8, 0x40f
	v_cndmask_b32_e32 v2, v7, v8, vcc
	v_cmp_eq_u32_e32 vcc, s8, v6
	v_cndmask_b32_e32 v2, v3, v2, vcc
	v_lshrrev_b32_e32 v3, 16, v1
	s_mov_b32 s8, 0x8000
	v_and_or_b32 v2, v3, s8, v2
	v_and_b32_e32 v2, 0xffff, v2
	global_store_dword v[4:5], v2, off
.LBB7_1066:
	s_mov_b64 s[8:9], 0
.LBB7_1067:
	s_andn2_b64 vcc, exec, s[8:9]
	s_cbranch_vccnz .LBB7_1076
; %bb.1068:
	s_sext_i32_i16 s10, s18
	s_cmp_lt_i32 s10, 6
	s_mov_b64 s[8:9], -1
	s_cbranch_scc1 .LBB7_1074
; %bb.1069:
	s_cmp_gt_i32 s10, 6
	s_cbranch_scc0 .LBB7_1071
; %bb.1070:
	s_mov_b64 s[8:9], 0
	s_waitcnt vmcnt(0)
	global_store_dwordx2 v[4:5], v[0:1], off
.LBB7_1071:
	s_andn2_b64 vcc, exec, s[8:9]
	s_cbranch_vccnz .LBB7_1073
; %bb.1072:
	v_cvt_f32_f64_e32 v2, v[0:1]
	s_waitcnt vmcnt(0)
	global_store_dword v[4:5], v2, off
.LBB7_1073:
	s_mov_b64 s[8:9], 0
.LBB7_1074:
	s_andn2_b64 vcc, exec, s[8:9]
	s_cbranch_vccnz .LBB7_1076
; %bb.1075:
	s_movk_i32 s8, 0x1ff
	v_and_or_b32 v2, v1, s8, v0
	v_cmp_ne_u32_e32 vcc, 0, v2
	v_cndmask_b32_e64 v2, 0, 1, vcc
	s_waitcnt vmcnt(0)
	v_lshrrev_b32_e32 v3, 8, v1
	s_movk_i32 s8, 0xffe
	v_bfe_u32 v6, v1, 20, 11
	v_and_or_b32 v2, v3, s8, v2
	v_sub_u32_e32 v7, 0x3f1, v6
	v_or_b32_e32 v3, 0x1000, v2
	v_med3_i32 v7, v7, 0, 13
	v_lshrrev_b32_e32 v8, v7, v3
	v_lshlrev_b32_e32 v7, v7, v8
	v_cmp_ne_u32_e32 vcc, v7, v3
	v_cndmask_b32_e64 v3, 0, 1, vcc
	v_add_u32_e32 v6, 0xfffffc10, v6
	v_or_b32_e32 v3, v8, v3
	v_lshl_or_b32 v7, v6, 12, v2
	v_cmp_gt_i32_e32 vcc, 1, v6
	v_cndmask_b32_e32 v3, v7, v3, vcc
	v_and_b32_e32 v7, 7, v3
	v_cmp_lt_i32_e32 vcc, 5, v7
	v_cndmask_b32_e64 v8, 0, 1, vcc
	v_cmp_eq_u32_e32 vcc, 3, v7
	v_cndmask_b32_e64 v7, 0, 1, vcc
	v_or_b32_e32 v7, v7, v8
	v_lshrrev_b32_e32 v3, 2, v3
	v_add_u32_e32 v3, v3, v7
	v_mov_b32_e32 v7, 0x7c00
	v_cmp_gt_i32_e32 vcc, 31, v6
	v_cndmask_b32_e32 v3, v7, v3, vcc
	v_mov_b32_e32 v8, 0x7e00
	v_cmp_ne_u32_e32 vcc, 0, v2
	s_movk_i32 s8, 0x40f
	v_cndmask_b32_e32 v2, v7, v8, vcc
	v_cmp_eq_u32_e32 vcc, s8, v6
	v_cndmask_b32_e32 v2, v3, v2, vcc
	v_lshrrev_b32_e32 v3, 16, v1
	s_mov_b32 s8, 0x8000
	v_and_or_b32 v2, v3, s8, v2
	global_store_short v[4:5], v2, off
.LBB7_1076:
	s_mov_b64 s[8:9], 0
.LBB7_1077:
	s_andn2_b64 vcc, exec, s[8:9]
	s_cbranch_vccnz .LBB7_1093
; %bb.1078:
	s_sext_i32_i16 s10, s18
	s_cmp_lt_i32 s10, 2
	s_mov_b64 s[8:9], -1
	s_cbranch_scc1 .LBB7_1088
; %bb.1079:
	s_cmp_lt_i32 s10, 3
	s_cbranch_scc1 .LBB7_1085
; %bb.1080:
	s_cmp_gt_i32 s10, 3
	s_cbranch_scc0 .LBB7_1082
; %bb.1081:
	s_waitcnt vmcnt(0)
	v_trunc_f64_e32 v[2:3], v[0:1]
	s_movk_i32 s8, 0xffe0
	v_ldexp_f64 v[6:7], v[2:3], s8
	s_mov_b32 s8, 0
	s_mov_b32 s9, 0xc1f00000
	v_floor_f64_e32 v[6:7], v[6:7]
	v_fma_f64 v[2:3], v[6:7], s[8:9], v[2:3]
	v_cvt_i32_f64_e32 v7, v[6:7]
	s_mov_b64 s[8:9], 0
	v_cvt_u32_f64_e32 v6, v[2:3]
	global_store_dwordx2 v[4:5], v[6:7], off
.LBB7_1082:
	s_andn2_b64 vcc, exec, s[8:9]
	s_cbranch_vccnz .LBB7_1084
; %bb.1083:
	v_cvt_i32_f64_e32 v2, v[0:1]
	s_waitcnt vmcnt(0)
	global_store_dword v[4:5], v2, off
.LBB7_1084:
	s_mov_b64 s[8:9], 0
.LBB7_1085:
	s_andn2_b64 vcc, exec, s[8:9]
	s_cbranch_vccnz .LBB7_1087
; %bb.1086:
	v_cvt_i32_f64_e32 v2, v[0:1]
	s_waitcnt vmcnt(0)
	global_store_short v[4:5], v2, off
.LBB7_1087:
	s_mov_b64 s[8:9], 0
.LBB7_1088:
	s_andn2_b64 vcc, exec, s[8:9]
	s_cbranch_vccnz .LBB7_1093
; %bb.1089:
	s_sext_i32_i16 s8, s18
	s_cmp_gt_i32 s8, 0
	s_mov_b64 s[8:9], -1
	s_cbranch_scc0 .LBB7_1091
; %bb.1090:
	v_cvt_i32_f64_e32 v2, v[0:1]
	s_mov_b64 s[8:9], 0
	s_waitcnt vmcnt(0)
	global_store_byte v[4:5], v2, off
.LBB7_1091:
	s_andn2_b64 vcc, exec, s[8:9]
	s_cbranch_vccnz .LBB7_1093
; %bb.1092:
	v_trunc_f64_e32 v[0:1], v[0:1]
	s_movk_i32 s8, 0xffe0
	s_waitcnt vmcnt(0)
	v_ldexp_f64 v[2:3], v[0:1], s8
	s_mov_b32 s8, 0
	s_mov_b32 s9, 0xc1f00000
	v_floor_f64_e32 v[2:3], v[2:3]
	v_fma_f64 v[0:1], v[2:3], s[8:9], v[0:1]
	v_cvt_u32_f64_e32 v0, v[0:1]
	global_store_byte v[4:5], v0, off
.LBB7_1093:
	s_or_b64 exec, exec, s[0:1]
	s_and_b64 s[28:29], s[2:3], exec
                                        ; implicit-def: $vgpr16
                                        ; implicit-def: $vgpr10
.LBB7_1094:
	s_or_saveexec_b64 s[30:31], s[42:43]
	s_mov_b64 s[0:1], 0
                                        ; implicit-def: $vgpr4_vgpr5
                                        ; implicit-def: $sgpr14
                                        ; implicit-def: $vgpr0_vgpr1
	s_xor_b64 exec, exec, s[30:31]
	s_cbranch_execz .LBB7_1752
; %bb.1095:
	v_cndmask_b32_e64 v0, 0, 1, s[40:41]
	v_cmp_ne_u32_e64 s[0:1], 1, v0
	s_andn2_b64 vcc, exec, s[40:41]
	s_cbranch_vccnz .LBB7_1101
; %bb.1096:
	s_cmp_lg_u32 s33, 0
	s_mov_b32 s36, 0
	s_cbranch_scc0 .LBB7_1102
; %bb.1097:
	s_min_u32 s37, s74, 15
	s_add_i32 s37, s37, 1
	s_cmp_eq_u32 s74, 2
	s_cbranch_scc1 .LBB7_1103
; %bb.1098:
	s_and_b32 s36, s37, 28
	s_add_u32 s2, s34, 0xc4
	s_addc_u32 s3, s35, 0
	s_waitcnt vmcnt(0)
	v_mov_b32_e32 v6, 0
	s_mov_b32 s38, 0
	s_mov_b64 s[6:7], s[34:35]
	v_mov_b32_e32 v8, 0
	v_mov_b32_e32 v0, v10
.LBB7_1099:                             ; =>This Inner Loop Header: Depth=1
	s_load_dwordx8 s[16:23], s[6:7], 0x4
	s_load_dwordx4 s[24:27], s[6:7], 0x24
	s_load_dwordx8 s[8:15], s[2:3], 0x0
	s_add_u32 s6, s6, 48
	s_addc_u32 s7, s7, 0
	s_waitcnt lgkmcnt(0)
	v_mul_hi_u32 v1, s17, v0
	s_add_i32 s38, s38, 4
	s_add_u32 s2, s2, 32
	s_addc_u32 s3, s3, 0
	v_add_u32_e32 v1, v0, v1
	v_lshrrev_b32_e32 v1, s18, v1
	v_mul_lo_u32 v2, v1, s16
	v_mul_hi_u32 v3, s20, v1
	s_cmp_lg_u32 s36, s38
	v_sub_u32_e32 v0, v0, v2
	v_add_u32_e32 v2, v1, v3
	v_mul_lo_u32 v3, v0, s8
	v_mul_lo_u32 v4, v0, s9
	v_lshrrev_b32_e32 v0, s21, v2
	v_mul_lo_u32 v2, v0, s19
	v_mul_hi_u32 v5, s23, v0
	v_sub_u32_e32 v1, v1, v2
	v_add_u32_e32 v2, v0, v5
	v_lshrrev_b32_e32 v2, s24, v2
	v_mul_hi_u32 v7, s26, v2
	v_mul_lo_u32 v9, v2, s22
	v_mul_lo_u32 v5, v1, s10
	;; [unrolled: 1-line block ×3, first 2 shown]
	v_sub_u32_e32 v9, v0, v9
	v_add_u32_e32 v0, v2, v7
	v_lshrrev_b32_e32 v0, s27, v0
	v_mul_lo_u32 v7, v0, s25
	v_mul_lo_u32 v11, v9, s12
	;; [unrolled: 1-line block ×3, first 2 shown]
	v_add3_u32 v3, v3, v8, v5
	v_sub_u32_e32 v2, v2, v7
	v_mul_lo_u32 v7, v2, s14
	v_mul_lo_u32 v2, v2, s15
	v_add3_u32 v1, v4, v6, v1
	v_add3_u32 v8, v11, v3, v7
	;; [unrolled: 1-line block ×3, first 2 shown]
	s_cbranch_scc1 .LBB7_1099
; %bb.1100:
	s_and_b32 s8, s37, 3
	s_cmp_eq_u32 s8, 0
	s_cbranch_scc0 .LBB7_1104
	s_branch .LBB7_1106
.LBB7_1101:
                                        ; implicit-def: $vgpr8
                                        ; implicit-def: $vgpr6
	s_branch .LBB7_1107
.LBB7_1102:
	v_mov_b32_e32 v8, 0
	s_waitcnt vmcnt(0)
	v_mov_b32_e32 v6, 0
	s_branch .LBB7_1106
.LBB7_1103:
	v_mov_b32_e32 v8, 0
	s_waitcnt vmcnt(0)
	v_mov_b32_e32 v6, 0
	v_mov_b32_e32 v0, v10
	s_and_b32 s8, s37, 3
	s_cmp_eq_u32 s8, 0
	s_cbranch_scc1 .LBB7_1106
.LBB7_1104:
	s_lshl_b32 s2, s36, 3
	s_add_u32 s2, s34, s2
	s_addc_u32 s3, s35, 0
	s_add_u32 s2, s2, 0xc4
	s_addc_u32 s3, s3, 0
	s_mul_i32 s6, s36, 12
	s_add_u32 s6, s34, s6
	s_addc_u32 s7, s35, 0
.LBB7_1105:                             ; =>This Inner Loop Header: Depth=1
	s_load_dwordx2 s[10:11], s[6:7], 0x4
	s_load_dword s9, s[6:7], 0xc
	s_load_dwordx2 s[12:13], s[2:3], 0x0
	s_add_u32 s6, s6, 12
	s_addc_u32 s7, s7, 0
	s_waitcnt lgkmcnt(0)
	v_mul_hi_u32 v1, s11, v0
	s_add_u32 s2, s2, 8
	s_addc_u32 s3, s3, 0
	s_add_i32 s8, s8, -1
	v_add_u32_e32 v1, v0, v1
	v_lshrrev_b32_e32 v1, s9, v1
	v_mul_lo_u32 v2, v1, s10
	s_cmp_lg_u32 s8, 0
	v_sub_u32_e32 v0, v0, v2
	v_mad_u64_u32 v[8:9], s[10:11], v0, s12, v[8:9]
	v_mad_u64_u32 v[6:7], s[10:11], v0, s13, v[6:7]
	v_mov_b32_e32 v0, v1
	s_cbranch_scc1 .LBB7_1105
.LBB7_1106:
	s_cbranch_execnz .LBB7_1109
.LBB7_1107:
	s_load_dwordx4 s[8:11], s[34:35], 0x4
	s_load_dwordx2 s[2:3], s[34:35], 0xc4
	s_cmp_lt_u32 s33, 2
	s_waitcnt lgkmcnt(0)
	v_mul_hi_u32 v0, s9, v10
	v_add_u32_e32 v0, v10, v0
	v_lshrrev_b32_e32 v0, s10, v0
	v_mul_lo_u32 v1, v0, s8
	v_sub_u32_e32 v1, v10, v1
	v_mul_lo_u32 v8, v1, s2
	s_waitcnt vmcnt(0)
	v_mul_lo_u32 v6, v1, s3
	s_cbranch_scc1 .LBB7_1109
; %bb.1108:
	s_load_dwordx4 s[8:11], s[34:35], 0x10
	s_load_dwordx2 s[2:3], s[34:35], 0xcc
	s_waitcnt lgkmcnt(0)
	v_mul_hi_u32 v1, s9, v0
	v_add_u32_e32 v1, v0, v1
	v_lshrrev_b32_e32 v1, s10, v1
	v_mul_lo_u32 v1, v1, s8
	v_sub_u32_e32 v0, v0, v1
	v_mad_u64_u32 v[8:9], s[6:7], v0, s2, v[8:9]
	v_mad_u64_u32 v[6:7], s[2:3], v0, s3, v[6:7]
.LBB7_1109:
	s_and_b64 vcc, exec, s[0:1]
	v_add_u32_e32 v0, 0x80, v10
	s_cbranch_vccnz .LBB7_1115
; %bb.1110:
	s_cmp_lg_u32 s33, 0
	s_mov_b32 s36, 0
	s_cbranch_scc0 .LBB7_1116
; %bb.1111:
	s_min_u32 s37, s74, 15
	s_add_i32 s37, s37, 1
	s_cmp_eq_u32 s74, 2
	s_cbranch_scc1 .LBB7_1117
; %bb.1112:
	s_and_b32 s36, s37, 28
	s_add_u32 s2, s34, 0xc4
	s_addc_u32 s3, s35, 0
	s_waitcnt vmcnt(0)
	v_mov_b32_e32 v4, 0
	s_mov_b32 s38, 0
	s_mov_b64 s[6:7], s[34:35]
	v_mov_b32_e32 v14, 0
	v_mov_b32_e32 v1, v0
.LBB7_1113:                             ; =>This Inner Loop Header: Depth=1
	s_load_dwordx8 s[16:23], s[6:7], 0x4
	s_load_dwordx4 s[24:27], s[6:7], 0x24
	s_load_dwordx8 s[8:15], s[2:3], 0x0
	s_add_u32 s6, s6, 48
	s_addc_u32 s7, s7, 0
	s_waitcnt lgkmcnt(0)
	v_mul_hi_u32 v2, s17, v1
	s_add_i32 s38, s38, 4
	s_add_u32 s2, s2, 32
	s_addc_u32 s3, s3, 0
	v_add_u32_e32 v2, v1, v2
	v_lshrrev_b32_e32 v2, s18, v2
	v_mul_lo_u32 v3, v2, s16
	v_mul_hi_u32 v5, s20, v2
	s_cmp_lg_u32 s36, s38
	v_sub_u32_e32 v1, v1, v3
	v_add_u32_e32 v3, v2, v5
	v_mul_lo_u32 v5, v1, s8
	v_mul_lo_u32 v7, v1, s9
	v_lshrrev_b32_e32 v1, s21, v3
	v_mul_lo_u32 v3, v1, s19
	v_mul_hi_u32 v9, s23, v1
	v_sub_u32_e32 v2, v2, v3
	v_add_u32_e32 v3, v1, v9
	v_lshrrev_b32_e32 v3, s24, v3
	v_mul_hi_u32 v11, s26, v3
	v_mul_lo_u32 v12, v3, s22
	v_mul_lo_u32 v9, v2, s10
	;; [unrolled: 1-line block ×3, first 2 shown]
	v_sub_u32_e32 v12, v1, v12
	v_add_u32_e32 v1, v3, v11
	v_lshrrev_b32_e32 v1, s27, v1
	v_mul_lo_u32 v11, v1, s25
	v_mul_lo_u32 v13, v12, s12
	;; [unrolled: 1-line block ×3, first 2 shown]
	v_add3_u32 v5, v5, v14, v9
	v_sub_u32_e32 v3, v3, v11
	v_mul_lo_u32 v11, v3, s14
	v_mul_lo_u32 v3, v3, s15
	v_add3_u32 v2, v7, v4, v2
	v_add3_u32 v14, v13, v5, v11
	;; [unrolled: 1-line block ×3, first 2 shown]
	s_cbranch_scc1 .LBB7_1113
; %bb.1114:
	s_and_b32 s8, s37, 3
	s_cmp_eq_u32 s8, 0
	s_cbranch_scc0 .LBB7_1118
	s_branch .LBB7_1120
.LBB7_1115:
                                        ; implicit-def: $vgpr14
                                        ; implicit-def: $vgpr4
	s_branch .LBB7_1121
.LBB7_1116:
	v_mov_b32_e32 v14, 0
	s_waitcnt vmcnt(0)
	v_mov_b32_e32 v4, 0
	s_branch .LBB7_1120
.LBB7_1117:
	v_mov_b32_e32 v14, 0
	s_waitcnt vmcnt(0)
	v_mov_b32_e32 v4, 0
	v_mov_b32_e32 v1, v0
	s_and_b32 s8, s37, 3
	s_cmp_eq_u32 s8, 0
	s_cbranch_scc1 .LBB7_1120
.LBB7_1118:
	s_lshl_b32 s2, s36, 3
	s_add_u32 s2, s34, s2
	s_addc_u32 s3, s35, 0
	s_add_u32 s2, s2, 0xc4
	s_addc_u32 s3, s3, 0
	s_mul_i32 s6, s36, 12
	s_add_u32 s6, s34, s6
	s_addc_u32 s7, s35, 0
.LBB7_1119:                             ; =>This Inner Loop Header: Depth=1
	s_load_dwordx2 s[10:11], s[6:7], 0x4
	s_load_dword s9, s[6:7], 0xc
	s_load_dwordx2 s[12:13], s[2:3], 0x0
	s_add_u32 s6, s6, 12
	s_addc_u32 s7, s7, 0
	s_waitcnt lgkmcnt(0)
	v_mul_hi_u32 v2, s11, v1
	s_add_u32 s2, s2, 8
	s_addc_u32 s3, s3, 0
	s_add_i32 s8, s8, -1
	v_add_u32_e32 v2, v1, v2
	v_lshrrev_b32_e32 v2, s9, v2
	v_mul_lo_u32 v3, v2, s10
	s_cmp_lg_u32 s8, 0
	v_sub_u32_e32 v1, v1, v3
	v_mad_u64_u32 v[14:15], s[10:11], v1, s12, v[14:15]
	v_mad_u64_u32 v[4:5], s[10:11], v1, s13, v[4:5]
	v_mov_b32_e32 v1, v2
	s_cbranch_scc1 .LBB7_1119
.LBB7_1120:
	s_cbranch_execnz .LBB7_1123
.LBB7_1121:
	s_load_dwordx4 s[8:11], s[34:35], 0x4
	s_load_dwordx2 s[2:3], s[34:35], 0xc4
	s_cmp_lt_u32 s33, 2
	s_waitcnt lgkmcnt(0)
	v_mul_hi_u32 v1, s9, v0
	v_add_u32_e32 v1, v0, v1
	v_lshrrev_b32_e32 v1, s10, v1
	v_mul_lo_u32 v2, v1, s8
	v_sub_u32_e32 v0, v0, v2
	v_mul_lo_u32 v14, v0, s2
	s_waitcnt vmcnt(0)
	v_mul_lo_u32 v4, v0, s3
	s_cbranch_scc1 .LBB7_1123
; %bb.1122:
	s_load_dwordx4 s[8:11], s[34:35], 0x10
	s_load_dwordx2 s[2:3], s[34:35], 0xcc
	s_waitcnt lgkmcnt(0)
	v_mul_hi_u32 v0, s9, v1
	v_add_u32_e32 v0, v1, v0
	v_lshrrev_b32_e32 v0, s10, v0
	v_mul_lo_u32 v0, v0, s8
	v_sub_u32_e32 v0, v1, v0
	v_mad_u64_u32 v[14:15], s[6:7], v0, s2, v[14:15]
	v_mad_u64_u32 v[4:5], s[2:3], v0, s3, v[4:5]
.LBB7_1123:
	s_and_b64 vcc, exec, s[0:1]
	v_add_u32_e32 v0, 0x100, v10
	s_cbranch_vccnz .LBB7_1129
; %bb.1124:
	s_cmp_lg_u32 s33, 0
	s_mov_b32 s36, 0
	s_cbranch_scc0 .LBB7_1130
; %bb.1125:
	s_min_u32 s37, s74, 15
	s_add_i32 s37, s37, 1
	s_cmp_eq_u32 s74, 2
	s_cbranch_scc1 .LBB7_1131
; %bb.1126:
	s_and_b32 s36, s37, 28
	s_add_u32 s2, s34, 0xc4
	s_addc_u32 s3, s35, 0
	v_mov_b32_e32 v2, 0
	s_mov_b32 s38, 0
	s_mov_b64 s[6:7], s[34:35]
	v_mov_b32_e32 v12, 0
	v_mov_b32_e32 v1, v0
.LBB7_1127:                             ; =>This Inner Loop Header: Depth=1
	s_load_dwordx8 s[16:23], s[6:7], 0x4
	s_load_dwordx4 s[24:27], s[6:7], 0x24
	s_load_dwordx8 s[8:15], s[2:3], 0x0
	s_add_u32 s6, s6, 48
	s_addc_u32 s7, s7, 0
	s_waitcnt vmcnt(0) lgkmcnt(0)
	v_mul_hi_u32 v3, s17, v1
	s_add_i32 s38, s38, 4
	s_add_u32 s2, s2, 32
	s_addc_u32 s3, s3, 0
	v_add_u32_e32 v3, v1, v3
	v_lshrrev_b32_e32 v3, s18, v3
	v_mul_lo_u32 v5, v3, s16
	v_mul_hi_u32 v7, s20, v3
	s_cmp_lg_u32 s36, s38
	v_sub_u32_e32 v1, v1, v5
	v_add_u32_e32 v5, v3, v7
	v_mul_lo_u32 v7, v1, s8
	v_mul_lo_u32 v9, v1, s9
	v_lshrrev_b32_e32 v1, s21, v5
	v_mul_lo_u32 v5, v1, s19
	v_mul_hi_u32 v10, s23, v1
	v_sub_u32_e32 v3, v3, v5
	v_add_u32_e32 v5, v1, v10
	v_lshrrev_b32_e32 v5, s24, v5
	v_mul_hi_u32 v11, s26, v5
	v_mul_lo_u32 v13, v5, s22
	v_mul_lo_u32 v10, v3, s10
	;; [unrolled: 1-line block ×3, first 2 shown]
	v_sub_u32_e32 v13, v1, v13
	v_add_u32_e32 v1, v5, v11
	v_lshrrev_b32_e32 v1, s27, v1
	v_mul_lo_u32 v11, v1, s25
	v_mul_lo_u32 v15, v13, s12
	;; [unrolled: 1-line block ×3, first 2 shown]
	v_add3_u32 v7, v7, v12, v10
	v_sub_u32_e32 v5, v5, v11
	v_mul_lo_u32 v11, v5, s14
	v_mul_lo_u32 v5, v5, s15
	v_add3_u32 v2, v9, v2, v3
	v_add3_u32 v12, v15, v7, v11
	;; [unrolled: 1-line block ×3, first 2 shown]
	s_cbranch_scc1 .LBB7_1127
; %bb.1128:
	s_and_b32 s8, s37, 3
	s_cmp_eq_u32 s8, 0
	s_cbranch_scc0 .LBB7_1132
	s_branch .LBB7_1134
.LBB7_1129:
                                        ; implicit-def: $vgpr12
                                        ; implicit-def: $vgpr2
	s_branch .LBB7_1135
.LBB7_1130:
	v_mov_b32_e32 v12, 0
	v_mov_b32_e32 v2, 0
	s_branch .LBB7_1134
.LBB7_1131:
	v_mov_b32_e32 v12, 0
	v_mov_b32_e32 v2, 0
	;; [unrolled: 1-line block ×3, first 2 shown]
	s_and_b32 s8, s37, 3
	s_cmp_eq_u32 s8, 0
	s_cbranch_scc1 .LBB7_1134
.LBB7_1132:
	s_lshl_b32 s2, s36, 3
	s_add_u32 s2, s34, s2
	s_addc_u32 s3, s35, 0
	s_add_u32 s2, s2, 0xc4
	s_addc_u32 s3, s3, 0
	s_mul_i32 s6, s36, 12
	s_add_u32 s6, s34, s6
	s_addc_u32 s7, s35, 0
.LBB7_1133:                             ; =>This Inner Loop Header: Depth=1
	s_load_dwordx2 s[10:11], s[6:7], 0x4
	s_load_dword s9, s[6:7], 0xc
	s_load_dwordx2 s[12:13], s[2:3], 0x0
	s_add_u32 s6, s6, 12
	s_addc_u32 s7, s7, 0
	s_waitcnt vmcnt(0) lgkmcnt(0)
	v_mul_hi_u32 v3, s11, v1
	s_add_u32 s2, s2, 8
	s_addc_u32 s3, s3, 0
	s_add_i32 s8, s8, -1
	v_add_u32_e32 v3, v1, v3
	v_lshrrev_b32_e32 v5, s9, v3
	v_mul_lo_u32 v3, v5, s10
	s_cmp_lg_u32 s8, 0
	v_sub_u32_e32 v1, v1, v3
	v_mad_u64_u32 v[12:13], s[10:11], v1, s12, v[12:13]
	v_mad_u64_u32 v[2:3], s[10:11], v1, s13, v[2:3]
	v_mov_b32_e32 v1, v5
	s_cbranch_scc1 .LBB7_1133
.LBB7_1134:
	s_cbranch_execnz .LBB7_1137
.LBB7_1135:
	s_load_dwordx4 s[8:11], s[34:35], 0x4
	s_load_dwordx2 s[2:3], s[34:35], 0xc4
	s_cmp_lt_u32 s33, 2
	s_waitcnt lgkmcnt(0)
	v_mul_hi_u32 v1, s9, v0
	v_add_u32_e32 v1, v0, v1
	v_lshrrev_b32_e32 v1, s10, v1
	v_mul_lo_u32 v2, v1, s8
	v_sub_u32_e32 v0, v0, v2
	v_mul_lo_u32 v12, v0, s2
	v_mul_lo_u32 v2, v0, s3
	s_cbranch_scc1 .LBB7_1137
; %bb.1136:
	s_load_dwordx4 s[8:11], s[34:35], 0x10
	s_load_dwordx2 s[2:3], s[34:35], 0xcc
	s_waitcnt lgkmcnt(0)
	v_mul_hi_u32 v0, s9, v1
	v_add_u32_e32 v0, v1, v0
	v_lshrrev_b32_e32 v0, s10, v0
	v_mul_lo_u32 v0, v0, s8
	v_sub_u32_e32 v0, v1, v0
	v_mad_u64_u32 v[12:13], s[6:7], v0, s2, v[12:13]
	s_waitcnt vmcnt(0)
	v_mad_u64_u32 v[2:3], s[2:3], v0, s3, v[2:3]
.LBB7_1137:
	s_and_b64 vcc, exec, s[0:1]
	s_cbranch_vccnz .LBB7_1143
; %bb.1138:
	s_cmp_lg_u32 s33, 0
	s_mov_b32 s26, 0
	s_cbranch_scc0 .LBB7_1144
; %bb.1139:
	s_min_u32 s27, s74, 15
	s_add_i32 s27, s27, 1
	s_cmp_eq_u32 s74, 2
	s_cbranch_scc1 .LBB7_1145
; %bb.1140:
	s_and_b32 s26, s27, 28
	s_add_u32 s6, s34, 0xc4
	s_addc_u32 s7, s35, 0
	v_mov_b32_e32 v0, 0
	s_mov_b32 s36, 0
	s_mov_b64 s[24:25], s[34:35]
	v_mov_b32_e32 v10, 0
	v_mov_b32_e32 v1, v16
.LBB7_1141:                             ; =>This Inner Loop Header: Depth=1
	s_load_dwordx8 s[16:23], s[24:25], 0x4
	s_load_dwordx4 s[0:3], s[24:25], 0x24
	s_load_dwordx8 s[8:15], s[6:7], 0x0
	s_add_u32 s24, s24, 48
	s_addc_u32 s25, s25, 0
	s_waitcnt vmcnt(0) lgkmcnt(0)
	v_mul_hi_u32 v3, s17, v1
	s_add_i32 s36, s36, 4
	s_add_u32 s6, s6, 32
	s_addc_u32 s7, s7, 0
	v_add_u32_e32 v3, v1, v3
	v_lshrrev_b32_e32 v3, s18, v3
	v_mul_lo_u32 v5, v3, s16
	v_mul_hi_u32 v7, s20, v3
	s_cmp_lg_u32 s26, s36
	v_sub_u32_e32 v1, v1, v5
	v_add_u32_e32 v5, v3, v7
	v_mul_lo_u32 v7, v1, s8
	v_mul_lo_u32 v9, v1, s9
	v_lshrrev_b32_e32 v1, s21, v5
	v_mul_lo_u32 v5, v1, s19
	v_mul_hi_u32 v11, s23, v1
	v_sub_u32_e32 v3, v3, v5
	v_add_u32_e32 v5, v1, v11
	v_lshrrev_b32_e32 v5, s0, v5
	v_mul_hi_u32 v13, s2, v5
	v_mul_lo_u32 v15, v5, s22
	v_mul_lo_u32 v11, v3, s10
	;; [unrolled: 1-line block ×3, first 2 shown]
	v_sub_u32_e32 v15, v1, v15
	v_add_u32_e32 v1, v5, v13
	v_lshrrev_b32_e32 v1, s3, v1
	v_mul_lo_u32 v13, v1, s1
	v_mul_lo_u32 v17, v15, s12
	;; [unrolled: 1-line block ×3, first 2 shown]
	v_add3_u32 v7, v7, v10, v11
	v_sub_u32_e32 v5, v5, v13
	v_mul_lo_u32 v13, v5, s14
	v_mul_lo_u32 v5, v5, s15
	v_add3_u32 v0, v9, v0, v3
	v_add3_u32 v10, v17, v7, v13
	;; [unrolled: 1-line block ×3, first 2 shown]
	s_cbranch_scc1 .LBB7_1141
; %bb.1142:
	s_and_b32 s6, s27, 3
	s_cmp_eq_u32 s6, 0
	s_cbranch_scc0 .LBB7_1146
	s_branch .LBB7_1148
.LBB7_1143:
                                        ; implicit-def: $vgpr10
                                        ; implicit-def: $vgpr0
	s_branch .LBB7_1149
.LBB7_1144:
	v_mov_b32_e32 v10, 0
	v_mov_b32_e32 v0, 0
	s_branch .LBB7_1148
.LBB7_1145:
	v_mov_b32_e32 v10, 0
	v_mov_b32_e32 v0, 0
	;; [unrolled: 1-line block ×3, first 2 shown]
	s_and_b32 s6, s27, 3
	s_cmp_eq_u32 s6, 0
	s_cbranch_scc1 .LBB7_1148
.LBB7_1146:
	s_lshl_b32 s0, s26, 3
	s_add_u32 s0, s34, s0
	s_addc_u32 s1, s35, 0
	s_add_u32 s0, s0, 0xc4
	s_addc_u32 s1, s1, 0
	s_mul_i32 s2, s26, 12
	s_add_u32 s2, s34, s2
	s_addc_u32 s3, s35, 0
.LBB7_1147:                             ; =>This Inner Loop Header: Depth=1
	s_load_dwordx2 s[8:9], s[2:3], 0x4
	s_load_dword s7, s[2:3], 0xc
	s_load_dwordx2 s[10:11], s[0:1], 0x0
	s_add_u32 s2, s2, 12
	s_addc_u32 s3, s3, 0
	s_waitcnt vmcnt(0) lgkmcnt(0)
	v_mul_hi_u32 v3, s9, v1
	s_add_u32 s0, s0, 8
	s_addc_u32 s1, s1, 0
	s_add_i32 s6, s6, -1
	v_add_u32_e32 v3, v1, v3
	v_lshrrev_b32_e32 v3, s7, v3
	v_mul_lo_u32 v5, v3, s8
	s_cmp_lg_u32 s6, 0
	v_sub_u32_e32 v1, v1, v5
	v_mad_u64_u32 v[10:11], s[8:9], v1, s10, v[10:11]
	v_mad_u64_u32 v[0:1], s[8:9], v1, s11, v[0:1]
	v_mov_b32_e32 v1, v3
	s_cbranch_scc1 .LBB7_1147
.LBB7_1148:
	s_cbranch_execnz .LBB7_1151
.LBB7_1149:
	s_load_dwordx4 s[0:3], s[34:35], 0x4
	s_load_dwordx2 s[6:7], s[34:35], 0xc4
	s_cmp_lt_u32 s33, 2
	s_waitcnt lgkmcnt(0)
	v_mul_hi_u32 v0, s1, v16
	v_add_u32_e32 v0, v16, v0
	v_lshrrev_b32_e32 v1, s2, v0
	v_mul_lo_u32 v0, v1, s0
	v_sub_u32_e32 v0, v16, v0
	v_mul_lo_u32 v10, v0, s6
	v_mul_lo_u32 v0, v0, s7
	s_cbranch_scc1 .LBB7_1151
; %bb.1150:
	s_load_dwordx4 s[0:3], s[34:35], 0x10
	s_load_dwordx2 s[6:7], s[34:35], 0xcc
	s_waitcnt vmcnt(0) lgkmcnt(0)
	v_mul_hi_u32 v3, s1, v1
	v_add_u32_e32 v3, v1, v3
	v_lshrrev_b32_e32 v3, s2, v3
	v_mul_lo_u32 v3, v3, s0
	v_sub_u32_e32 v1, v1, v3
	v_mad_u64_u32 v[10:11], s[0:1], v1, s6, v[10:11]
	v_mad_u64_u32 v[0:1], s[0:1], v1, s7, v[0:1]
.LBB7_1151:
	s_load_dwordx4 s[8:11], s[34:35], 0x148
	s_load_dword s14, s[4:5], 0x168
	s_waitcnt lgkmcnt(0)
	v_mov_b32_e32 v1, s11
	s_bfe_u32 s15, s14, 0x80008
	s_waitcnt vmcnt(0)
	v_add_co_u32_e32 v5, vcc, s10, v6
	s_cmp_lt_i32 s15, 11
	v_addc_co_u32_e32 v6, vcc, 0, v1, vcc
	s_cbranch_scc1 .LBB7_1158
; %bb.1152:
	s_and_b32 s16, 0xffff, s15
	s_cmp_gt_i32 s16, 25
	s_mov_b64 s[4:5], 0
	s_cbranch_scc0 .LBB7_1160
; %bb.1153:
	s_cmp_gt_i32 s16, 28
	s_cbranch_scc0 .LBB7_1161
; %bb.1154:
	s_cmp_gt_i32 s16, 43
	;; [unrolled: 3-line block ×3, first 2 shown]
	s_cbranch_scc0 .LBB7_1163
; %bb.1156:
	s_cmp_eq_u32 s16, 46
	s_mov_b64 s[2:3], 0
	s_cbranch_scc0 .LBB7_1166
; %bb.1157:
	global_load_dword v1, v[5:6], off
	s_mov_b64 s[0:1], 0
	s_mov_b64 s[6:7], -1
	s_waitcnt vmcnt(0)
	v_lshlrev_b32_e32 v1, 16, v1
	v_cvt_f64_f32_e32 v[15:16], v1
	s_branch .LBB7_1167
.LBB7_1158:
	s_mov_b64 s[6:7], 0
                                        ; implicit-def: $vgpr15_vgpr16
	s_mov_b64 s[2:3], s[28:29]
	s_cbranch_execnz .LBB7_1230
.LBB7_1159:
	s_andn2_b64 vcc, exec, s[6:7]
	s_cbranch_vccz .LBB7_1275
	s_branch .LBB7_1749
.LBB7_1160:
	s_mov_b64 s[6:7], 0
	s_mov_b64 s[0:1], 0
                                        ; implicit-def: $vgpr15_vgpr16
	s_cbranch_execnz .LBB7_1197
	s_branch .LBB7_1226
.LBB7_1161:
	s_mov_b64 s[2:3], -1
	s_mov_b64 s[6:7], 0
	s_mov_b64 s[0:1], 0
                                        ; implicit-def: $vgpr15_vgpr16
	s_branch .LBB7_1176
.LBB7_1162:
	s_mov_b64 s[6:7], 0
	s_mov_b64 s[0:1], 0
                                        ; implicit-def: $vgpr15_vgpr16
	s_cbranch_execnz .LBB7_1172
	s_branch .LBB7_1175
.LBB7_1163:
	s_mov_b64 s[2:3], -1
	s_mov_b64 s[6:7], 0
	s_mov_b64 s[0:1], 0
                                        ; implicit-def: $vgpr15_vgpr16
	s_branch .LBB7_1167
.LBB7_1164:
	s_andn2_saveexec_b64 s[14:15], s[14:15]
	s_cbranch_execz .LBB7_1007
.LBB7_1165:
	s_mov_b32 s16, 0x46000000
	v_add_f32_e64 v3, |v2|, s16
	v_and_b32_e32 v3, 0xff, v3
	v_cmp_ne_u32_e32 vcc, 0, v3
	s_andn2_b64 s[12:13], s[12:13], exec
	s_and_b64 s[16:17], vcc, exec
	s_or_b64 s[12:13], s[12:13], s[16:17]
	s_or_b64 exec, exec, s[14:15]
	v_mov_b32_e32 v6, 0
	s_and_saveexec_b64 s[14:15], s[12:13]
	s_cbranch_execnz .LBB7_1008
	s_branch .LBB7_1009
.LBB7_1166:
	s_mov_b64 s[0:1], -1
                                        ; implicit-def: $vgpr15_vgpr16
	s_mov_b64 s[6:7], 0
.LBB7_1167:
	s_and_b64 vcc, exec, s[2:3]
	s_cbranch_vccz .LBB7_1170
; %bb.1168:
	s_cmp_eq_u32 s16, 44
	s_cbranch_scc0 .LBB7_1171
; %bb.1169:
	global_load_ubyte v1, v[5:6], off
	s_movk_i32 s2, 0xff
	v_bfrev_b32_e32 v3, 4
	v_mov_b32_e32 v7, 0x7ff80000
	s_mov_b64 s[0:1], 0
	s_mov_b64 s[6:7], -1
	s_waitcnt vmcnt(0)
	v_lshlrev_b32_e32 v9, 23, v1
	v_cvt_f64_f32_e32 v[15:16], v9
	v_cmp_ne_u32_e32 vcc, s2, v1
	v_bfrev_b32_e32 v9, 28
	v_cndmask_b32_e32 v3, v3, v15, vcc
	v_cndmask_b32_e32 v7, v7, v16, vcc
	v_cmp_ne_u32_e32 vcc, 0, v1
	v_cndmask_b32_e32 v16, v9, v7, vcc
	v_cndmask_b32_e32 v15, 0, v3, vcc
.LBB7_1170:
	s_branch .LBB7_1175
.LBB7_1171:
	s_mov_b64 s[0:1], -1
                                        ; implicit-def: $vgpr15_vgpr16
	s_branch .LBB7_1175
.LBB7_1172:
	s_cmp_eq_u32 s16, 29
	s_cbranch_scc0 .LBB7_1174
; %bb.1173:
	global_load_dwordx2 v[15:16], v[5:6], off
	s_mov_b64 s[0:1], 0
	s_mov_b64 s[6:7], -1
	s_mov_b64 s[2:3], 0
	s_waitcnt vmcnt(0)
	v_cvt_f64_u32_e32 v[16:17], v16
	v_cvt_f64_u32_e32 v[18:19], v15
	v_ldexp_f64 v[16:17], v[16:17], 32
	v_add_f64 v[15:16], v[16:17], v[18:19]
	s_branch .LBB7_1176
.LBB7_1174:
	s_mov_b64 s[0:1], -1
                                        ; implicit-def: $vgpr15_vgpr16
.LBB7_1175:
	s_mov_b64 s[2:3], 0
.LBB7_1176:
	s_and_b64 vcc, exec, s[2:3]
	s_cbranch_vccz .LBB7_1196
; %bb.1177:
	s_cmp_lt_i32 s16, 27
	s_cbranch_scc1 .LBB7_1180
; %bb.1178:
	s_cmp_gt_i32 s16, 27
	s_cbranch_scc0 .LBB7_1181
; %bb.1179:
	global_load_dword v1, v[5:6], off
	s_mov_b64 s[2:3], 0
	s_waitcnt vmcnt(0)
	v_cvt_f64_u32_e32 v[15:16], v1
	s_branch .LBB7_1182
.LBB7_1180:
	s_mov_b64 s[2:3], -1
                                        ; implicit-def: $vgpr15_vgpr16
	s_branch .LBB7_1185
.LBB7_1181:
	s_mov_b64 s[2:3], -1
                                        ; implicit-def: $vgpr15_vgpr16
.LBB7_1182:
	s_andn2_b64 vcc, exec, s[2:3]
	s_cbranch_vccnz .LBB7_1184
; %bb.1183:
	global_load_ushort v1, v[5:6], off
	s_waitcnt vmcnt(0)
	v_cvt_f64_u32_e32 v[15:16], v1
.LBB7_1184:
	s_mov_b64 s[2:3], 0
.LBB7_1185:
	s_andn2_b64 vcc, exec, s[2:3]
	s_cbranch_vccnz .LBB7_1195
; %bb.1186:
	global_load_ubyte v1, v[5:6], off
	s_movk_i32 s2, 0x7f
	s_waitcnt vmcnt(0)
	v_cmp_lt_i16_e32 vcc, s2, v1
	s_mov_b64 s[2:3], 0
	s_and_saveexec_b64 s[6:7], vcc
	s_xor_b64 s[6:7], exec, s[6:7]
	s_cbranch_execz .LBB7_1190
; %bb.1187:
	s_movk_i32 s2, 0x80
	v_cmp_eq_u16_e32 vcc, s2, v1
	s_mov_b64 s[2:3], -1
	s_and_saveexec_b64 s[12:13], vcc
; %bb.1188:
	s_xor_b64 s[2:3], exec, -1
; %bb.1189:
	s_or_b64 exec, exec, s[12:13]
	s_and_b64 s[2:3], s[2:3], exec
.LBB7_1190:
	s_or_saveexec_b64 s[6:7], s[6:7]
	v_bfrev_b32_e32 v15, 4
	v_mov_b32_e32 v16, 0x7ff80000
	s_xor_b64 exec, exec, s[6:7]
; %bb.1191:
	v_cmp_ne_u16_e32 vcc, 0, v1
	v_mov_b32_e32 v15, 0
	s_andn2_b64 s[2:3], s[2:3], exec
	s_and_b64 s[12:13], vcc, exec
	v_mov_b32_e32 v16, 0
	s_or_b64 s[2:3], s[2:3], s[12:13]
; %bb.1192:
	s_or_b64 exec, exec, s[6:7]
	s_and_saveexec_b64 s[6:7], s[2:3]
	s_cbranch_execz .LBB7_1194
; %bb.1193:
	v_lshlrev_b32_e32 v3, 24, v1
	v_and_b32_e32 v1, 0xffff, v1
	v_and_b32_e32 v7, 7, v1
	v_ffbh_u32_e32 v11, v7
	v_min_u32_e32 v11, 32, v11
	v_subrev_u32_e32 v13, 28, v11
	v_bfe_u32 v9, v1, 3, 4
	v_lshlrev_b32_e32 v1, v13, v1
	v_sub_u32_e32 v11, 29, v11
	v_and_b32_e32 v1, 7, v1
	v_cmp_eq_u32_e32 vcc, 0, v9
	v_cndmask_b32_e32 v9, v9, v11, vcc
	v_cndmask_b32_e32 v1, v7, v1, vcc
	v_mov_b32_e32 v7, 0x3b800000
	v_lshlrev_b32_e32 v1, 20, v1
	v_and_b32_e32 v3, 0x80000000, v3
	v_lshl_add_u32 v7, v9, 23, v7
	v_or3_b32 v1, v3, v7, v1
	v_cvt_f64_f32_e32 v[15:16], v1
.LBB7_1194:
	s_or_b64 exec, exec, s[6:7]
.LBB7_1195:
	s_mov_b64 s[6:7], -1
.LBB7_1196:
	s_branch .LBB7_1226
.LBB7_1197:
	s_cmp_gt_i32 s16, 22
	s_cbranch_scc0 .LBB7_1209
; %bb.1198:
	s_cmp_lt_i32 s16, 24
	s_cbranch_scc1 .LBB7_1210
; %bb.1199:
	s_cmp_gt_i32 s16, 24
	s_cbranch_scc0 .LBB7_1211
; %bb.1200:
	global_load_ubyte v1, v[5:6], off
	s_movk_i32 s2, 0x7f
	s_waitcnt vmcnt(0)
	v_cmp_lt_i16_e32 vcc, s2, v1
	s_mov_b64 s[2:3], 0
	s_and_saveexec_b64 s[4:5], vcc
	s_xor_b64 s[4:5], exec, s[4:5]
	s_cbranch_execz .LBB7_1204
; %bb.1201:
	s_movk_i32 s2, 0x80
	v_cmp_eq_u16_e32 vcc, s2, v1
	s_mov_b64 s[2:3], -1
	s_and_saveexec_b64 s[6:7], vcc
; %bb.1202:
	s_xor_b64 s[2:3], exec, -1
; %bb.1203:
	s_or_b64 exec, exec, s[6:7]
	s_and_b64 s[2:3], s[2:3], exec
.LBB7_1204:
	s_or_saveexec_b64 s[4:5], s[4:5]
	v_bfrev_b32_e32 v15, 4
	v_mov_b32_e32 v16, 0x7ff80000
	s_xor_b64 exec, exec, s[4:5]
; %bb.1205:
	v_cmp_ne_u16_e32 vcc, 0, v1
	v_mov_b32_e32 v15, 0
	s_andn2_b64 s[2:3], s[2:3], exec
	s_and_b64 s[6:7], vcc, exec
	v_mov_b32_e32 v16, 0
	s_or_b64 s[2:3], s[2:3], s[6:7]
; %bb.1206:
	s_or_b64 exec, exec, s[4:5]
	s_and_saveexec_b64 s[4:5], s[2:3]
	s_cbranch_execz .LBB7_1208
; %bb.1207:
	v_lshlrev_b32_e32 v3, 24, v1
	v_and_b32_e32 v1, 0xffff, v1
	v_and_b32_e32 v7, 3, v1
	v_ffbh_u32_e32 v11, v7
	v_min_u32_e32 v11, 32, v11
	v_subrev_u32_e32 v13, 29, v11
	v_bfe_u32 v9, v1, 2, 5
	v_lshlrev_b32_e32 v1, v13, v1
	v_sub_u32_e32 v11, 30, v11
	v_and_b32_e32 v1, 3, v1
	v_cmp_eq_u32_e32 vcc, 0, v9
	v_cndmask_b32_e32 v9, v9, v11, vcc
	v_cndmask_b32_e32 v1, v7, v1, vcc
	v_mov_b32_e32 v7, 0x37800000
	v_lshlrev_b32_e32 v1, 21, v1
	v_and_b32_e32 v3, 0x80000000, v3
	v_lshl_add_u32 v7, v9, 23, v7
	v_or3_b32 v1, v3, v7, v1
	v_cvt_f64_f32_e32 v[15:16], v1
.LBB7_1208:
	s_or_b64 exec, exec, s[4:5]
	s_mov_b64 s[2:3], 0
	s_branch .LBB7_1212
.LBB7_1209:
                                        ; implicit-def: $vgpr15_vgpr16
	s_mov_b64 s[4:5], 0
	s_branch .LBB7_1218
.LBB7_1210:
	s_mov_b64 s[2:3], -1
                                        ; implicit-def: $vgpr15_vgpr16
	s_branch .LBB7_1215
.LBB7_1211:
	s_mov_b64 s[2:3], -1
                                        ; implicit-def: $vgpr15_vgpr16
.LBB7_1212:
	s_and_b64 vcc, exec, s[2:3]
	s_cbranch_vccz .LBB7_1214
; %bb.1213:
	global_load_ubyte v1, v[5:6], off
	s_mov_b32 s2, 0x7f800000
	s_waitcnt vmcnt(0)
	v_lshlrev_b32_e32 v1, 24, v1
	v_and_b32_e32 v3, 0x7f000000, v1
	v_ffbh_u32_e32 v7, v3
	v_min_u32_e32 v7, 32, v7
	v_sub_u32_e64 v7, v7, 4 clamp
	v_lshlrev_b32_e32 v11, v7, v3
	v_lshlrev_b32_e32 v7, 23, v7
	v_lshrrev_b32_e32 v11, 4, v11
	v_add_u32_e32 v9, 0x1000000, v3
	v_sub_u32_e32 v7, v11, v7
	v_ashrrev_i32_e32 v9, 8, v9
	v_add_u32_e32 v7, 0x3c000000, v7
	v_and_or_b32 v7, v9, s2, v7
	v_cmp_ne_u32_e32 vcc, 0, v3
	v_cndmask_b32_e32 v3, 0, v7, vcc
	s_brev_b32 s2, 1
	v_and_or_b32 v1, v1, s2, v3
	v_cvt_f64_f32_e32 v[15:16], v1
.LBB7_1214:
	s_mov_b64 s[2:3], 0
.LBB7_1215:
	s_andn2_b64 vcc, exec, s[2:3]
	s_cbranch_vccnz .LBB7_1217
; %bb.1216:
	global_load_ubyte v1, v[5:6], off
	s_movk_i32 s2, 0x7f00
	s_brev_b32 s3, 16
	s_waitcnt vmcnt(0)
	v_lshlrev_b16_e32 v3, 8, v1
	v_lshlrev_b32_e32 v1, 25, v1
	v_lshrrev_b32_e32 v7, 4, v1
	v_and_or_b32 v9, v3, s2, 0.5
	v_or_b32_e32 v7, 0x70000000, v7
	v_add_f32_e32 v9, -0.5, v9
	v_mul_f32_e32 v7, 0x7800000, v7
	v_cmp_gt_u32_e32 vcc, s3, v1
	v_bfe_i32 v3, v3, 0, 16
	v_cndmask_b32_e32 v1, v7, v9, vcc
	s_brev_b32 s2, 1
	v_and_or_b32 v1, v3, s2, v1
	v_cvt_f64_f32_e32 v[15:16], v1
.LBB7_1217:
	s_mov_b64 s[6:7], -1
	s_mov_b64 s[4:5], 0
	s_cbranch_execnz .LBB7_1226
.LBB7_1218:
	s_cmp_gt_i32 s16, 14
	s_cbranch_scc0 .LBB7_1221
; %bb.1219:
	s_cmp_eq_u32 s16, 15
	s_cbranch_scc0 .LBB7_1222
; %bb.1220:
	global_load_ushort v1, v[5:6], off
	s_mov_b64 s[0:1], 0
	s_mov_b64 s[6:7], -1
	s_waitcnt vmcnt(0)
	v_lshlrev_b32_e32 v1, 16, v1
	v_cvt_f64_f32_e32 v[15:16], v1
	s_branch .LBB7_1223
.LBB7_1221:
	s_mov_b64 s[2:3], -1
                                        ; implicit-def: $vgpr15_vgpr16
	s_branch .LBB7_1224
.LBB7_1222:
	s_mov_b64 s[0:1], -1
                                        ; implicit-def: $vgpr15_vgpr16
.LBB7_1223:
	s_mov_b64 s[2:3], 0
.LBB7_1224:
	s_and_b64 vcc, exec, s[2:3]
	s_cbranch_vccz .LBB7_1226
; %bb.1225:
	s_cmp_lg_u32 s16, 11
	s_mov_b64 s[4:5], -1
	s_cselect_b64 s[0:1], -1, 0
.LBB7_1226:
	s_and_b64 vcc, exec, s[0:1]
	s_mov_b64 s[2:3], s[28:29]
	s_cbranch_vccnz .LBB7_1289
; %bb.1227:
	s_andn2_b64 vcc, exec, s[4:5]
	s_cbranch_vccnz .LBB7_1229
.LBB7_1228:
	global_load_ubyte v1, v[5:6], off
	v_mov_b32_e32 v3, 0x3ff00000
	v_mov_b32_e32 v15, 0
	s_mov_b64 s[6:7], -1
	s_waitcnt vmcnt(0)
	v_cmp_ne_u16_e32 vcc, 0, v1
	v_cndmask_b32_e32 v16, 0, v3, vcc
.LBB7_1229:
	s_branch .LBB7_1159
.LBB7_1230:
	s_and_b32 s4, 0xffff, s15
	s_cmp_lt_i32 s4, 5
	s_cbranch_scc1 .LBB7_1235
; %bb.1231:
	s_cmp_lt_i32 s4, 8
	s_cbranch_scc1 .LBB7_1236
; %bb.1232:
	;; [unrolled: 3-line block ×3, first 2 shown]
	s_cmp_gt_i32 s4, 9
	s_cbranch_scc0 .LBB7_1238
; %bb.1234:
	global_load_dwordx2 v[15:16], v[5:6], off
	s_mov_b64 s[0:1], 0
	s_branch .LBB7_1239
.LBB7_1235:
                                        ; implicit-def: $vgpr15_vgpr16
	s_branch .LBB7_1256
.LBB7_1236:
                                        ; implicit-def: $vgpr15_vgpr16
	s_branch .LBB7_1245
.LBB7_1237:
	s_mov_b64 s[0:1], -1
                                        ; implicit-def: $vgpr15_vgpr16
	s_branch .LBB7_1242
.LBB7_1238:
	s_mov_b64 s[0:1], -1
                                        ; implicit-def: $vgpr15_vgpr16
.LBB7_1239:
	s_andn2_b64 vcc, exec, s[0:1]
	s_cbranch_vccnz .LBB7_1241
; %bb.1240:
	global_load_dword v1, v[5:6], off
	s_waitcnt vmcnt(0)
	v_cvt_f64_f32_e32 v[15:16], v1
.LBB7_1241:
	s_mov_b64 s[0:1], 0
.LBB7_1242:
	s_andn2_b64 vcc, exec, s[0:1]
	s_cbranch_vccnz .LBB7_1244
; %bb.1243:
	global_load_dword v1, v[5:6], off
	s_waitcnt vmcnt(0)
	v_cvt_f32_f16_e32 v1, v1
	v_cvt_f64_f32_e32 v[15:16], v1
.LBB7_1244:
	s_cbranch_execnz .LBB7_1255
.LBB7_1245:
	s_cmp_lt_i32 s4, 6
	s_cbranch_scc1 .LBB7_1248
; %bb.1246:
	s_cmp_gt_i32 s4, 6
	s_cbranch_scc0 .LBB7_1249
; %bb.1247:
	global_load_dwordx2 v[15:16], v[5:6], off
	s_mov_b64 s[0:1], 0
	s_branch .LBB7_1250
.LBB7_1248:
	s_mov_b64 s[0:1], -1
                                        ; implicit-def: $vgpr15_vgpr16
	s_branch .LBB7_1253
.LBB7_1249:
	s_mov_b64 s[0:1], -1
                                        ; implicit-def: $vgpr15_vgpr16
.LBB7_1250:
	s_andn2_b64 vcc, exec, s[0:1]
	s_cbranch_vccnz .LBB7_1252
; %bb.1251:
	global_load_dword v1, v[5:6], off
	s_waitcnt vmcnt(0)
	v_cvt_f64_f32_e32 v[15:16], v1
.LBB7_1252:
	s_mov_b64 s[0:1], 0
.LBB7_1253:
	s_andn2_b64 vcc, exec, s[0:1]
	s_cbranch_vccnz .LBB7_1255
; %bb.1254:
	global_load_ushort v1, v[5:6], off
	s_waitcnt vmcnt(0)
	v_cvt_f32_f16_e32 v1, v1
	v_cvt_f64_f32_e32 v[15:16], v1
.LBB7_1255:
	s_cbranch_execnz .LBB7_1274
.LBB7_1256:
	s_cmp_lt_i32 s4, 2
	s_cbranch_scc1 .LBB7_1260
; %bb.1257:
	s_cmp_lt_i32 s4, 3
	s_cbranch_scc1 .LBB7_1261
; %bb.1258:
	s_cmp_gt_i32 s4, 3
	s_cbranch_scc0 .LBB7_1262
; %bb.1259:
	global_load_dwordx2 v[15:16], v[5:6], off
	s_mov_b64 s[0:1], 0
	s_waitcnt vmcnt(0)
	v_cvt_f64_i32_e32 v[16:17], v16
	v_cvt_f64_u32_e32 v[18:19], v15
	v_ldexp_f64 v[16:17], v[16:17], 32
	v_add_f64 v[15:16], v[16:17], v[18:19]
	s_branch .LBB7_1263
.LBB7_1260:
                                        ; implicit-def: $vgpr15_vgpr16
	s_branch .LBB7_1269
.LBB7_1261:
	s_mov_b64 s[0:1], -1
                                        ; implicit-def: $vgpr15_vgpr16
	s_branch .LBB7_1266
.LBB7_1262:
	s_mov_b64 s[0:1], -1
                                        ; implicit-def: $vgpr15_vgpr16
.LBB7_1263:
	s_andn2_b64 vcc, exec, s[0:1]
	s_cbranch_vccnz .LBB7_1265
; %bb.1264:
	global_load_dword v1, v[5:6], off
	s_waitcnt vmcnt(0)
	v_cvt_f64_i32_e32 v[15:16], v1
.LBB7_1265:
	s_mov_b64 s[0:1], 0
.LBB7_1266:
	s_andn2_b64 vcc, exec, s[0:1]
	s_cbranch_vccnz .LBB7_1268
; %bb.1267:
	global_load_sshort v1, v[5:6], off
	s_waitcnt vmcnt(0)
	v_cvt_f64_i32_e32 v[15:16], v1
.LBB7_1268:
	s_cbranch_execnz .LBB7_1274
.LBB7_1269:
	s_cmp_gt_i32 s4, 0
	s_cbranch_scc0 .LBB7_1271
; %bb.1270:
	global_load_sbyte v1, v[5:6], off
	s_mov_b64 s[0:1], 0
	s_waitcnt vmcnt(0)
	v_cvt_f64_i32_e32 v[15:16], v1
	s_branch .LBB7_1272
.LBB7_1271:
	s_mov_b64 s[0:1], -1
                                        ; implicit-def: $vgpr15_vgpr16
.LBB7_1272:
	s_andn2_b64 vcc, exec, s[0:1]
	s_cbranch_vccnz .LBB7_1274
; %bb.1273:
	global_load_ubyte v1, v[5:6], off
	s_waitcnt vmcnt(0)
	v_cvt_f64_u32_e32 v[15:16], v1
.LBB7_1274:
.LBB7_1275:
	s_load_dwordx2 s[0:1], s[34:35], 0x158
	v_mov_b32_e32 v6, 0
	v_mov_b32_e32 v7, 0x3ff00000
	s_waitcnt vmcnt(0) lgkmcnt(0)
	v_cmp_lt_f64_e32 vcc, s[0:1], v[15:16]
	s_and_saveexec_b64 s[4:5], vcc
	s_cbranch_execz .LBB7_1277
; %bb.1276:
	s_mov_b32 s6, 0x9abcaf48
	s_mov_b32 s7, 0x3e7ad7f2
	v_add_f64 v[5:6], v[15:16], s[6:7]
	v_div_scale_f64 v[15:16], s[6:7], v[5:6], v[5:6], s[0:1]
	v_div_scale_f64 v[21:22], vcc, s[0:1], v[5:6], s[0:1]
	v_rcp_f64_e32 v[17:18], v[15:16]
	v_fma_f64 v[19:20], -v[15:16], v[17:18], 1.0
	v_fma_f64 v[17:18], v[17:18], v[19:20], v[17:18]
	v_fma_f64 v[19:20], -v[15:16], v[17:18], 1.0
	v_fma_f64 v[17:18], v[17:18], v[19:20], v[17:18]
	v_mul_f64 v[19:20], v[21:22], v[17:18]
	v_fma_f64 v[15:16], -v[15:16], v[19:20], v[21:22]
	v_div_fmas_f64 v[15:16], v[15:16], v[17:18], v[19:20]
	v_div_fixup_f64 v[6:7], v[15:16], v[5:6], s[0:1]
.LBB7_1277:
	s_or_b64 exec, exec, s[4:5]
	s_lshr_b32 s4, s14, 8
	v_mov_b32_e32 v1, s11
	s_and_b32 s18, s4, 0xff
	v_add_co_u32_e32 v3, vcc, s10, v4
	s_cmp_lt_i32 s18, 11
	v_addc_co_u32_e32 v4, vcc, 0, v1, vcc
	s_cbranch_scc1 .LBB7_1284
; %bb.1278:
	s_and_b32 s19, 0xffff, s18
	s_cmp_gt_i32 s19, 25
	s_mov_b64 s[6:7], 0
	s_cbranch_scc0 .LBB7_1286
; %bb.1279:
	s_cmp_gt_i32 s19, 28
	s_cbranch_scc0 .LBB7_1287
; %bb.1280:
	s_cmp_gt_i32 s19, 43
	s_cbranch_scc0 .LBB7_1288
; %bb.1281:
	s_cmp_gt_i32 s19, 45
	s_cbranch_scc0 .LBB7_1290
; %bb.1282:
	s_cmp_eq_u32 s19, 46
	s_mov_b64 s[14:15], 0
	s_cbranch_scc0 .LBB7_1293
; %bb.1283:
	global_load_dword v1, v[3:4], off
	s_mov_b64 s[4:5], 0
	s_mov_b64 s[12:13], -1
	s_waitcnt vmcnt(0)
	v_lshlrev_b32_e32 v1, 16, v1
	v_cvt_f64_f32_e32 v[15:16], v1
	s_branch .LBB7_1294
.LBB7_1284:
	s_mov_b64 s[12:13], 0
                                        ; implicit-def: $vgpr15_vgpr16
	s_cbranch_execnz .LBB7_1359
.LBB7_1285:
	s_andn2_b64 vcc, exec, s[12:13]
	s_cbranch_vccnz .LBB7_1749
	s_branch .LBB7_1406
.LBB7_1286:
	s_mov_b64 s[12:13], 0
	s_mov_b64 s[4:5], 0
                                        ; implicit-def: $vgpr15_vgpr16
	s_cbranch_execnz .LBB7_1325
	s_branch .LBB7_1355
.LBB7_1287:
	s_mov_b64 s[14:15], -1
	s_mov_b64 s[12:13], 0
	s_mov_b64 s[4:5], 0
                                        ; implicit-def: $vgpr15_vgpr16
	s_branch .LBB7_1304
.LBB7_1288:
	s_mov_b64 s[14:15], -1
	s_mov_b64 s[12:13], 0
	s_mov_b64 s[4:5], 0
                                        ; implicit-def: $vgpr15_vgpr16
	s_branch .LBB7_1299
.LBB7_1289:
	s_or_b64 s[2:3], s[28:29], exec
	s_trap 2
	s_cbranch_execz .LBB7_1228
	s_branch .LBB7_1229
.LBB7_1290:
	s_mov_b64 s[14:15], -1
	s_mov_b64 s[12:13], 0
	s_mov_b64 s[4:5], 0
                                        ; implicit-def: $vgpr15_vgpr16
	s_branch .LBB7_1294
.LBB7_1291:
	s_andn2_saveexec_b64 s[16:17], s[16:17]
	s_cbranch_execz .LBB7_1019
.LBB7_1292:
	s_mov_b32 s20, 0x42800000
	v_add_f32_e64 v3, |v2|, s20
	v_and_b32_e32 v3, 0xff, v3
	v_cmp_ne_u32_e32 vcc, 0, v3
	s_andn2_b64 s[14:15], s[14:15], exec
	s_and_b64 s[20:21], vcc, exec
	s_or_b64 s[14:15], s[14:15], s[20:21]
	s_or_b64 exec, exec, s[16:17]
	v_mov_b32_e32 v6, 0
	s_and_saveexec_b64 s[16:17], s[14:15]
	s_cbranch_execnz .LBB7_1020
	s_branch .LBB7_1021
.LBB7_1293:
	s_mov_b64 s[4:5], -1
                                        ; implicit-def: $vgpr15_vgpr16
	s_mov_b64 s[12:13], 0
.LBB7_1294:
	s_and_b64 vcc, exec, s[14:15]
	s_cbranch_vccz .LBB7_1298
; %bb.1295:
	s_cmp_eq_u32 s19, 44
	s_cbranch_scc0 .LBB7_1297
; %bb.1296:
	global_load_ubyte v1, v[3:4], off
	s_movk_i32 s12, 0xff
	v_bfrev_b32_e32 v5, 4
	v_mov_b32_e32 v9, 0x7ff80000
	s_mov_b64 s[4:5], 0
	s_waitcnt vmcnt(0)
	v_lshlrev_b32_e32 v11, 23, v1
	v_cvt_f64_f32_e32 v[15:16], v11
	v_cmp_ne_u32_e32 vcc, s12, v1
	v_bfrev_b32_e32 v11, 28
	s_mov_b64 s[12:13], -1
	v_cndmask_b32_e32 v5, v5, v15, vcc
	v_cndmask_b32_e32 v9, v9, v16, vcc
	v_cmp_ne_u32_e32 vcc, 0, v1
	v_cndmask_b32_e32 v16, v11, v9, vcc
	v_cndmask_b32_e32 v15, 0, v5, vcc
	s_branch .LBB7_1298
.LBB7_1297:
	s_mov_b64 s[4:5], -1
                                        ; implicit-def: $vgpr15_vgpr16
.LBB7_1298:
	s_mov_b64 s[14:15], 0
.LBB7_1299:
	s_and_b64 vcc, exec, s[14:15]
	s_cbranch_vccz .LBB7_1303
; %bb.1300:
	s_cmp_eq_u32 s19, 29
	s_cbranch_scc0 .LBB7_1302
; %bb.1301:
	global_load_dwordx2 v[15:16], v[3:4], off
	s_mov_b64 s[4:5], 0
	s_mov_b64 s[12:13], -1
	s_mov_b64 s[14:15], 0
	s_waitcnt vmcnt(0)
	v_cvt_f64_u32_e32 v[16:17], v16
	v_cvt_f64_u32_e32 v[18:19], v15
	v_ldexp_f64 v[16:17], v[16:17], 32
	v_add_f64 v[15:16], v[16:17], v[18:19]
	s_branch .LBB7_1304
.LBB7_1302:
	s_mov_b64 s[4:5], -1
                                        ; implicit-def: $vgpr15_vgpr16
.LBB7_1303:
	s_mov_b64 s[14:15], 0
.LBB7_1304:
	s_and_b64 vcc, exec, s[14:15]
	s_cbranch_vccz .LBB7_1324
; %bb.1305:
	s_cmp_lt_i32 s19, 27
	s_cbranch_scc1 .LBB7_1308
; %bb.1306:
	s_cmp_gt_i32 s19, 27
	s_cbranch_scc0 .LBB7_1309
; %bb.1307:
	global_load_dword v1, v[3:4], off
	s_mov_b64 s[12:13], 0
	s_waitcnt vmcnt(0)
	v_cvt_f64_u32_e32 v[15:16], v1
	s_branch .LBB7_1310
.LBB7_1308:
	s_mov_b64 s[12:13], -1
                                        ; implicit-def: $vgpr15_vgpr16
	s_branch .LBB7_1313
.LBB7_1309:
	s_mov_b64 s[12:13], -1
                                        ; implicit-def: $vgpr15_vgpr16
.LBB7_1310:
	s_andn2_b64 vcc, exec, s[12:13]
	s_cbranch_vccnz .LBB7_1312
; %bb.1311:
	global_load_ushort v1, v[3:4], off
	s_waitcnt vmcnt(0)
	v_cvt_f64_u32_e32 v[15:16], v1
.LBB7_1312:
	s_mov_b64 s[12:13], 0
.LBB7_1313:
	s_andn2_b64 vcc, exec, s[12:13]
	s_cbranch_vccnz .LBB7_1323
; %bb.1314:
	global_load_ubyte v1, v[3:4], off
	s_movk_i32 s12, 0x7f
	s_waitcnt vmcnt(0)
	v_cmp_lt_i16_e32 vcc, s12, v1
	s_mov_b64 s[12:13], 0
	s_and_saveexec_b64 s[14:15], vcc
	s_xor_b64 s[14:15], exec, s[14:15]
	s_cbranch_execz .LBB7_1318
; %bb.1315:
	s_movk_i32 s12, 0x80
	v_cmp_eq_u16_e32 vcc, s12, v1
	s_mov_b64 s[12:13], -1
	s_and_saveexec_b64 s[16:17], vcc
; %bb.1316:
	s_xor_b64 s[12:13], exec, -1
; %bb.1317:
	s_or_b64 exec, exec, s[16:17]
	s_and_b64 s[12:13], s[12:13], exec
.LBB7_1318:
	s_or_saveexec_b64 s[14:15], s[14:15]
	v_bfrev_b32_e32 v15, 4
	v_mov_b32_e32 v16, 0x7ff80000
	s_xor_b64 exec, exec, s[14:15]
; %bb.1319:
	v_cmp_ne_u16_e32 vcc, 0, v1
	v_mov_b32_e32 v15, 0
	s_andn2_b64 s[12:13], s[12:13], exec
	s_and_b64 s[16:17], vcc, exec
	v_mov_b32_e32 v16, 0
	s_or_b64 s[12:13], s[12:13], s[16:17]
; %bb.1320:
	s_or_b64 exec, exec, s[14:15]
	s_and_saveexec_b64 s[14:15], s[12:13]
	s_cbranch_execz .LBB7_1322
; %bb.1321:
	v_lshlrev_b32_e32 v5, 24, v1
	v_and_b32_e32 v1, 0xffff, v1
	v_and_b32_e32 v9, 7, v1
	v_ffbh_u32_e32 v13, v9
	v_min_u32_e32 v13, 32, v13
	v_subrev_u32_e32 v15, 28, v13
	v_bfe_u32 v11, v1, 3, 4
	v_lshlrev_b32_e32 v1, v15, v1
	v_sub_u32_e32 v13, 29, v13
	v_and_b32_e32 v1, 7, v1
	v_cmp_eq_u32_e32 vcc, 0, v11
	v_cndmask_b32_e32 v11, v11, v13, vcc
	v_cndmask_b32_e32 v1, v9, v1, vcc
	v_mov_b32_e32 v9, 0x3b800000
	v_lshlrev_b32_e32 v1, 20, v1
	v_and_b32_e32 v5, 0x80000000, v5
	v_lshl_add_u32 v9, v11, 23, v9
	v_or3_b32 v1, v5, v9, v1
	v_cvt_f64_f32_e32 v[15:16], v1
.LBB7_1322:
	s_or_b64 exec, exec, s[14:15]
.LBB7_1323:
	s_mov_b64 s[12:13], -1
.LBB7_1324:
	s_branch .LBB7_1355
.LBB7_1325:
	s_cmp_gt_i32 s19, 22
	s_cbranch_scc0 .LBB7_1337
; %bb.1326:
	s_cmp_lt_i32 s19, 24
	s_cbranch_scc1 .LBB7_1338
; %bb.1327:
	s_cmp_gt_i32 s19, 24
	s_cbranch_scc0 .LBB7_1339
; %bb.1328:
	global_load_ubyte v1, v[3:4], off
	s_movk_i32 s6, 0x7f
	s_waitcnt vmcnt(0)
	v_cmp_lt_i16_e32 vcc, s6, v1
	s_mov_b64 s[6:7], 0
	s_and_saveexec_b64 s[12:13], vcc
	s_xor_b64 s[12:13], exec, s[12:13]
	s_cbranch_execz .LBB7_1332
; %bb.1329:
	s_movk_i32 s6, 0x80
	v_cmp_eq_u16_e32 vcc, s6, v1
	s_mov_b64 s[6:7], -1
	s_and_saveexec_b64 s[14:15], vcc
; %bb.1330:
	s_xor_b64 s[6:7], exec, -1
; %bb.1331:
	s_or_b64 exec, exec, s[14:15]
	s_and_b64 s[6:7], s[6:7], exec
.LBB7_1332:
	s_or_saveexec_b64 s[12:13], s[12:13]
	v_bfrev_b32_e32 v15, 4
	v_mov_b32_e32 v16, 0x7ff80000
	s_xor_b64 exec, exec, s[12:13]
; %bb.1333:
	v_cmp_ne_u16_e32 vcc, 0, v1
	v_mov_b32_e32 v15, 0
	s_andn2_b64 s[6:7], s[6:7], exec
	s_and_b64 s[14:15], vcc, exec
	v_mov_b32_e32 v16, 0
	s_or_b64 s[6:7], s[6:7], s[14:15]
; %bb.1334:
	s_or_b64 exec, exec, s[12:13]
	s_and_saveexec_b64 s[12:13], s[6:7]
	s_cbranch_execz .LBB7_1336
; %bb.1335:
	v_lshlrev_b32_e32 v5, 24, v1
	v_and_b32_e32 v1, 0xffff, v1
	v_and_b32_e32 v9, 3, v1
	v_ffbh_u32_e32 v13, v9
	v_min_u32_e32 v13, 32, v13
	v_subrev_u32_e32 v15, 29, v13
	v_bfe_u32 v11, v1, 2, 5
	v_lshlrev_b32_e32 v1, v15, v1
	v_sub_u32_e32 v13, 30, v13
	v_and_b32_e32 v1, 3, v1
	v_cmp_eq_u32_e32 vcc, 0, v11
	v_cndmask_b32_e32 v11, v11, v13, vcc
	v_cndmask_b32_e32 v1, v9, v1, vcc
	v_mov_b32_e32 v9, 0x37800000
	v_lshlrev_b32_e32 v1, 21, v1
	v_and_b32_e32 v5, 0x80000000, v5
	v_lshl_add_u32 v9, v11, 23, v9
	v_or3_b32 v1, v5, v9, v1
	v_cvt_f64_f32_e32 v[15:16], v1
.LBB7_1336:
	s_or_b64 exec, exec, s[12:13]
	s_mov_b64 s[6:7], 0
	s_branch .LBB7_1340
.LBB7_1337:
	s_mov_b64 s[6:7], -1
                                        ; implicit-def: $vgpr15_vgpr16
	s_branch .LBB7_1346
.LBB7_1338:
	s_mov_b64 s[6:7], -1
                                        ; implicit-def: $vgpr15_vgpr16
	s_branch .LBB7_1343
.LBB7_1339:
	s_mov_b64 s[6:7], -1
                                        ; implicit-def: $vgpr15_vgpr16
.LBB7_1340:
	s_and_b64 vcc, exec, s[6:7]
	s_cbranch_vccz .LBB7_1342
; %bb.1341:
	global_load_ubyte v1, v[3:4], off
	s_mov_b32 s6, 0x7f800000
	s_waitcnt vmcnt(0)
	v_lshlrev_b32_e32 v1, 24, v1
	v_and_b32_e32 v5, 0x7f000000, v1
	v_ffbh_u32_e32 v9, v5
	v_min_u32_e32 v9, 32, v9
	v_sub_u32_e64 v9, v9, 4 clamp
	v_lshlrev_b32_e32 v13, v9, v5
	v_lshlrev_b32_e32 v9, 23, v9
	v_lshrrev_b32_e32 v13, 4, v13
	v_add_u32_e32 v11, 0x1000000, v5
	v_sub_u32_e32 v9, v13, v9
	v_ashrrev_i32_e32 v11, 8, v11
	v_add_u32_e32 v9, 0x3c000000, v9
	v_and_or_b32 v9, v11, s6, v9
	v_cmp_ne_u32_e32 vcc, 0, v5
	v_cndmask_b32_e32 v5, 0, v9, vcc
	s_brev_b32 s6, 1
	v_and_or_b32 v1, v1, s6, v5
	v_cvt_f64_f32_e32 v[15:16], v1
.LBB7_1342:
	s_mov_b64 s[6:7], 0
.LBB7_1343:
	s_andn2_b64 vcc, exec, s[6:7]
	s_cbranch_vccnz .LBB7_1345
; %bb.1344:
	global_load_ubyte v1, v[3:4], off
	s_movk_i32 s6, 0x7f00
	s_brev_b32 s7, 16
	s_waitcnt vmcnt(0)
	v_lshlrev_b16_e32 v5, 8, v1
	v_lshlrev_b32_e32 v1, 25, v1
	v_lshrrev_b32_e32 v9, 4, v1
	v_and_or_b32 v11, v5, s6, 0.5
	v_or_b32_e32 v9, 0x70000000, v9
	v_add_f32_e32 v11, -0.5, v11
	v_mul_f32_e32 v9, 0x7800000, v9
	v_cmp_gt_u32_e32 vcc, s7, v1
	v_bfe_i32 v5, v5, 0, 16
	v_cndmask_b32_e32 v1, v9, v11, vcc
	s_brev_b32 s6, 1
	v_and_or_b32 v1, v5, s6, v1
	v_cvt_f64_f32_e32 v[15:16], v1
.LBB7_1345:
	s_mov_b64 s[6:7], 0
	s_mov_b64 s[12:13], -1
.LBB7_1346:
	s_andn2_b64 vcc, exec, s[6:7]
	s_mov_b64 s[6:7], 0
	s_cbranch_vccnz .LBB7_1355
; %bb.1347:
	s_cmp_gt_i32 s19, 14
	s_cbranch_scc0 .LBB7_1350
; %bb.1348:
	s_cmp_eq_u32 s19, 15
	s_cbranch_scc0 .LBB7_1351
; %bb.1349:
	global_load_ushort v1, v[3:4], off
	s_mov_b64 s[4:5], 0
	s_mov_b64 s[12:13], -1
	s_waitcnt vmcnt(0)
	v_lshlrev_b32_e32 v1, 16, v1
	v_cvt_f64_f32_e32 v[15:16], v1
	s_branch .LBB7_1352
.LBB7_1350:
	s_mov_b64 s[14:15], -1
                                        ; implicit-def: $vgpr15_vgpr16
	s_branch .LBB7_1353
.LBB7_1351:
	s_mov_b64 s[4:5], -1
                                        ; implicit-def: $vgpr15_vgpr16
.LBB7_1352:
	s_mov_b64 s[14:15], 0
.LBB7_1353:
	s_and_b64 vcc, exec, s[14:15]
	s_cbranch_vccz .LBB7_1355
; %bb.1354:
	s_cmp_lg_u32 s19, 11
	s_mov_b64 s[6:7], -1
	s_cselect_b64 s[4:5], -1, 0
.LBB7_1355:
	s_and_b64 vcc, exec, s[4:5]
	s_cbranch_vccnz .LBB7_1420
; %bb.1356:
	s_andn2_b64 vcc, exec, s[6:7]
	s_cbranch_vccnz .LBB7_1358
.LBB7_1357:
	global_load_ubyte v1, v[3:4], off
	v_mov_b32_e32 v5, 0x3ff00000
	v_mov_b32_e32 v15, 0
	s_mov_b64 s[12:13], -1
	s_waitcnt vmcnt(0)
	v_cmp_ne_u16_e32 vcc, 0, v1
	v_cndmask_b32_e32 v16, 0, v5, vcc
.LBB7_1358:
	s_branch .LBB7_1285
.LBB7_1359:
	s_and_b32 s6, 0xffff, s18
	s_cmp_lt_i32 s6, 5
	s_cbranch_scc1 .LBB7_1364
; %bb.1360:
	s_cmp_lt_i32 s6, 8
	s_cbranch_scc1 .LBB7_1365
; %bb.1361:
	;; [unrolled: 3-line block ×3, first 2 shown]
	s_cmp_gt_i32 s6, 9
	s_cbranch_scc0 .LBB7_1367
; %bb.1363:
	global_load_dwordx2 v[15:16], v[3:4], off
	s_mov_b64 s[4:5], 0
	s_branch .LBB7_1368
.LBB7_1364:
                                        ; implicit-def: $vgpr15_vgpr16
	s_branch .LBB7_1386
.LBB7_1365:
	s_mov_b64 s[4:5], -1
                                        ; implicit-def: $vgpr15_vgpr16
	s_branch .LBB7_1374
.LBB7_1366:
	s_mov_b64 s[4:5], -1
                                        ; implicit-def: $vgpr15_vgpr16
	s_branch .LBB7_1371
.LBB7_1367:
	s_mov_b64 s[4:5], -1
                                        ; implicit-def: $vgpr15_vgpr16
.LBB7_1368:
	s_andn2_b64 vcc, exec, s[4:5]
	s_cbranch_vccnz .LBB7_1370
; %bb.1369:
	global_load_dword v1, v[3:4], off
	s_waitcnt vmcnt(0)
	v_cvt_f64_f32_e32 v[15:16], v1
.LBB7_1370:
	s_mov_b64 s[4:5], 0
.LBB7_1371:
	s_andn2_b64 vcc, exec, s[4:5]
	s_cbranch_vccnz .LBB7_1373
; %bb.1372:
	global_load_dword v1, v[3:4], off
	s_waitcnt vmcnt(0)
	v_cvt_f32_f16_e32 v1, v1
	v_cvt_f64_f32_e32 v[15:16], v1
.LBB7_1373:
	s_mov_b64 s[4:5], 0
.LBB7_1374:
	s_andn2_b64 vcc, exec, s[4:5]
	s_cbranch_vccnz .LBB7_1385
; %bb.1375:
	s_cmp_lt_i32 s6, 6
	s_cbranch_scc1 .LBB7_1378
; %bb.1376:
	s_cmp_gt_i32 s6, 6
	s_cbranch_scc0 .LBB7_1379
; %bb.1377:
	global_load_dwordx2 v[15:16], v[3:4], off
	s_mov_b64 s[4:5], 0
	s_branch .LBB7_1380
.LBB7_1378:
	s_mov_b64 s[4:5], -1
                                        ; implicit-def: $vgpr15_vgpr16
	s_branch .LBB7_1383
.LBB7_1379:
	s_mov_b64 s[4:5], -1
                                        ; implicit-def: $vgpr15_vgpr16
.LBB7_1380:
	s_andn2_b64 vcc, exec, s[4:5]
	s_cbranch_vccnz .LBB7_1382
; %bb.1381:
	global_load_dword v1, v[3:4], off
	s_waitcnt vmcnt(0)
	v_cvt_f64_f32_e32 v[15:16], v1
.LBB7_1382:
	s_mov_b64 s[4:5], 0
.LBB7_1383:
	s_andn2_b64 vcc, exec, s[4:5]
	s_cbranch_vccnz .LBB7_1385
; %bb.1384:
	global_load_ushort v1, v[3:4], off
	s_waitcnt vmcnt(0)
	v_cvt_f32_f16_e32 v1, v1
	v_cvt_f64_f32_e32 v[15:16], v1
.LBB7_1385:
	s_cbranch_execnz .LBB7_1405
.LBB7_1386:
	s_cmp_lt_i32 s6, 2
	s_cbranch_scc1 .LBB7_1390
; %bb.1387:
	s_cmp_lt_i32 s6, 3
	s_cbranch_scc1 .LBB7_1391
; %bb.1388:
	s_cmp_gt_i32 s6, 3
	s_cbranch_scc0 .LBB7_1392
; %bb.1389:
	global_load_dwordx2 v[15:16], v[3:4], off
	s_mov_b64 s[4:5], 0
	s_waitcnt vmcnt(0)
	v_cvt_f64_i32_e32 v[16:17], v16
	v_cvt_f64_u32_e32 v[18:19], v15
	v_ldexp_f64 v[16:17], v[16:17], 32
	v_add_f64 v[15:16], v[16:17], v[18:19]
	s_branch .LBB7_1393
.LBB7_1390:
	s_mov_b64 s[4:5], -1
                                        ; implicit-def: $vgpr15_vgpr16
	s_branch .LBB7_1399
.LBB7_1391:
	s_mov_b64 s[4:5], -1
                                        ; implicit-def: $vgpr15_vgpr16
	s_branch .LBB7_1396
.LBB7_1392:
	s_mov_b64 s[4:5], -1
                                        ; implicit-def: $vgpr15_vgpr16
.LBB7_1393:
	s_andn2_b64 vcc, exec, s[4:5]
	s_cbranch_vccnz .LBB7_1395
; %bb.1394:
	global_load_dword v1, v[3:4], off
	s_waitcnt vmcnt(0)
	v_cvt_f64_i32_e32 v[15:16], v1
.LBB7_1395:
	s_mov_b64 s[4:5], 0
.LBB7_1396:
	s_andn2_b64 vcc, exec, s[4:5]
	s_cbranch_vccnz .LBB7_1398
; %bb.1397:
	global_load_sshort v1, v[3:4], off
	s_waitcnt vmcnt(0)
	v_cvt_f64_i32_e32 v[15:16], v1
.LBB7_1398:
	s_mov_b64 s[4:5], 0
.LBB7_1399:
	s_andn2_b64 vcc, exec, s[4:5]
	s_cbranch_vccnz .LBB7_1405
; %bb.1400:
	s_cmp_gt_i32 s6, 0
	s_cbranch_scc0 .LBB7_1402
; %bb.1401:
	global_load_sbyte v1, v[3:4], off
	s_mov_b64 s[4:5], 0
	s_waitcnt vmcnt(0)
	v_cvt_f64_i32_e32 v[15:16], v1
	s_branch .LBB7_1403
.LBB7_1402:
	s_mov_b64 s[4:5], -1
                                        ; implicit-def: $vgpr15_vgpr16
.LBB7_1403:
	s_andn2_b64 vcc, exec, s[4:5]
	s_cbranch_vccnz .LBB7_1405
; %bb.1404:
	global_load_ubyte v1, v[3:4], off
	s_waitcnt vmcnt(0)
	v_cvt_f64_u32_e32 v[15:16], v1
.LBB7_1405:
.LBB7_1406:
	s_waitcnt vmcnt(0)
	v_cmp_lt_f64_e32 vcc, s[0:1], v[15:16]
	v_mov_b32_e32 v4, 0
	v_mov_b32_e32 v5, 0x3ff00000
	s_and_saveexec_b64 s[4:5], vcc
	s_cbranch_execz .LBB7_1408
; %bb.1407:
	s_mov_b32 s6, 0x9abcaf48
	s_mov_b32 s7, 0x3e7ad7f2
	v_add_f64 v[3:4], v[15:16], s[6:7]
	v_div_scale_f64 v[15:16], s[6:7], v[3:4], v[3:4], s[0:1]
	v_div_scale_f64 v[21:22], vcc, s[0:1], v[3:4], s[0:1]
	v_rcp_f64_e32 v[17:18], v[15:16]
	v_fma_f64 v[19:20], -v[15:16], v[17:18], 1.0
	v_fma_f64 v[17:18], v[17:18], v[19:20], v[17:18]
	v_fma_f64 v[19:20], -v[15:16], v[17:18], 1.0
	v_fma_f64 v[17:18], v[17:18], v[19:20], v[17:18]
	v_mul_f64 v[19:20], v[21:22], v[17:18]
	v_fma_f64 v[15:16], -v[15:16], v[19:20], v[21:22]
	v_div_fmas_f64 v[15:16], v[15:16], v[17:18], v[19:20]
	v_div_fixup_f64 v[4:5], v[15:16], v[3:4], s[0:1]
.LBB7_1408:
	s_or_b64 exec, exec, s[4:5]
	v_mov_b32_e32 v3, s11
	v_add_co_u32_e32 v1, vcc, s10, v2
	s_cmp_lt_i32 s18, 11
	v_addc_co_u32_e32 v2, vcc, 0, v3, vcc
	s_cbranch_scc1 .LBB7_1415
; %bb.1409:
	s_and_b32 s19, 0xffff, s18
	s_cmp_gt_i32 s19, 25
	s_mov_b64 s[6:7], 0
	s_cbranch_scc0 .LBB7_1417
; %bb.1410:
	s_cmp_gt_i32 s19, 28
	s_cbranch_scc0 .LBB7_1418
; %bb.1411:
	s_cmp_gt_i32 s19, 43
	;; [unrolled: 3-line block ×3, first 2 shown]
	s_cbranch_scc0 .LBB7_1421
; %bb.1413:
	s_cmp_eq_u32 s19, 46
	s_mov_b64 s[14:15], 0
	s_cbranch_scc0 .LBB7_1422
; %bb.1414:
	global_load_dword v3, v[1:2], off
	s_mov_b64 s[4:5], 0
	s_mov_b64 s[12:13], -1
	s_waitcnt vmcnt(0)
	v_lshlrev_b32_e32 v3, 16, v3
	v_cvt_f64_f32_e32 v[15:16], v3
	s_branch .LBB7_1423
.LBB7_1415:
	s_mov_b64 s[12:13], 0
                                        ; implicit-def: $vgpr15_vgpr16
	s_cbranch_execnz .LBB7_1489
.LBB7_1416:
	s_andn2_b64 vcc, exec, s[12:13]
	s_cbranch_vccnz .LBB7_1749
	s_branch .LBB7_1537
.LBB7_1417:
	s_mov_b64 s[14:15], -1
	s_mov_b64 s[12:13], 0
	s_mov_b64 s[4:5], 0
                                        ; implicit-def: $vgpr15_vgpr16
	s_branch .LBB7_1454
.LBB7_1418:
	s_mov_b64 s[14:15], -1
	s_mov_b64 s[12:13], 0
	s_mov_b64 s[4:5], 0
                                        ; implicit-def: $vgpr15_vgpr16
	s_branch .LBB7_1433
.LBB7_1419:
	s_mov_b64 s[14:15], -1
	s_mov_b64 s[12:13], 0
	s_mov_b64 s[4:5], 0
                                        ; implicit-def: $vgpr15_vgpr16
	s_branch .LBB7_1428
.LBB7_1420:
	s_trap 2
	s_or_b64 s[2:3], s[2:3], exec
	s_cbranch_execz .LBB7_1357
	s_branch .LBB7_1358
.LBB7_1421:
	s_mov_b64 s[14:15], -1
	s_mov_b64 s[12:13], 0
	s_mov_b64 s[4:5], 0
                                        ; implicit-def: $vgpr15_vgpr16
	s_branch .LBB7_1423
.LBB7_1422:
	s_mov_b64 s[4:5], -1
                                        ; implicit-def: $vgpr15_vgpr16
	s_mov_b64 s[12:13], 0
.LBB7_1423:
	s_and_b64 vcc, exec, s[14:15]
	s_cbranch_vccz .LBB7_1427
; %bb.1424:
	s_cmp_eq_u32 s19, 44
	s_cbranch_scc0 .LBB7_1426
; %bb.1425:
	global_load_ubyte v3, v[1:2], off
	s_movk_i32 s12, 0xff
	v_bfrev_b32_e32 v9, 4
	v_mov_b32_e32 v11, 0x7ff80000
	s_mov_b64 s[4:5], 0
	s_waitcnt vmcnt(0)
	v_lshlrev_b32_e32 v13, 23, v3
	v_cvt_f64_f32_e32 v[15:16], v13
	v_cmp_ne_u32_e32 vcc, s12, v3
	v_bfrev_b32_e32 v13, 28
	s_mov_b64 s[12:13], -1
	v_cndmask_b32_e32 v9, v9, v15, vcc
	v_cndmask_b32_e32 v11, v11, v16, vcc
	v_cmp_ne_u32_e32 vcc, 0, v3
	v_cndmask_b32_e32 v16, v13, v11, vcc
	v_cndmask_b32_e32 v15, 0, v9, vcc
	s_branch .LBB7_1427
.LBB7_1426:
	s_mov_b64 s[4:5], -1
                                        ; implicit-def: $vgpr15_vgpr16
.LBB7_1427:
	s_mov_b64 s[14:15], 0
.LBB7_1428:
	s_and_b64 vcc, exec, s[14:15]
	s_cbranch_vccz .LBB7_1432
; %bb.1429:
	s_cmp_eq_u32 s19, 29
	s_cbranch_scc0 .LBB7_1431
; %bb.1430:
	global_load_dwordx2 v[15:16], v[1:2], off
	s_mov_b64 s[4:5], 0
	s_mov_b64 s[12:13], -1
	s_mov_b64 s[14:15], 0
	s_waitcnt vmcnt(0)
	v_cvt_f64_u32_e32 v[16:17], v16
	v_cvt_f64_u32_e32 v[18:19], v15
	v_ldexp_f64 v[16:17], v[16:17], 32
	v_add_f64 v[15:16], v[16:17], v[18:19]
	s_branch .LBB7_1433
.LBB7_1431:
	s_mov_b64 s[4:5], -1
                                        ; implicit-def: $vgpr15_vgpr16
.LBB7_1432:
	s_mov_b64 s[14:15], 0
.LBB7_1433:
	s_and_b64 vcc, exec, s[14:15]
	s_cbranch_vccz .LBB7_1453
; %bb.1434:
	s_cmp_lt_i32 s19, 27
	s_cbranch_scc1 .LBB7_1437
; %bb.1435:
	s_cmp_gt_i32 s19, 27
	s_cbranch_scc0 .LBB7_1438
; %bb.1436:
	global_load_dword v3, v[1:2], off
	s_mov_b64 s[12:13], 0
	s_waitcnt vmcnt(0)
	v_cvt_f64_u32_e32 v[15:16], v3
	s_branch .LBB7_1439
.LBB7_1437:
	s_mov_b64 s[12:13], -1
                                        ; implicit-def: $vgpr15_vgpr16
	s_branch .LBB7_1442
.LBB7_1438:
	s_mov_b64 s[12:13], -1
                                        ; implicit-def: $vgpr15_vgpr16
.LBB7_1439:
	s_andn2_b64 vcc, exec, s[12:13]
	s_cbranch_vccnz .LBB7_1441
; %bb.1440:
	global_load_ushort v3, v[1:2], off
	s_waitcnt vmcnt(0)
	v_cvt_f64_u32_e32 v[15:16], v3
.LBB7_1441:
	s_mov_b64 s[12:13], 0
.LBB7_1442:
	s_andn2_b64 vcc, exec, s[12:13]
	s_cbranch_vccnz .LBB7_1452
; %bb.1443:
	global_load_ubyte v3, v[1:2], off
	s_movk_i32 s12, 0x7f
	s_waitcnt vmcnt(0)
	v_cmp_lt_i16_e32 vcc, s12, v3
	s_mov_b64 s[12:13], 0
	s_and_saveexec_b64 s[14:15], vcc
	s_xor_b64 s[14:15], exec, s[14:15]
	s_cbranch_execz .LBB7_1447
; %bb.1444:
	s_movk_i32 s12, 0x80
	v_cmp_eq_u16_e32 vcc, s12, v3
	s_mov_b64 s[12:13], -1
	s_and_saveexec_b64 s[16:17], vcc
; %bb.1445:
	s_xor_b64 s[12:13], exec, -1
; %bb.1446:
	s_or_b64 exec, exec, s[16:17]
	s_and_b64 s[12:13], s[12:13], exec
.LBB7_1447:
	s_or_saveexec_b64 s[14:15], s[14:15]
	v_bfrev_b32_e32 v15, 4
	v_mov_b32_e32 v16, 0x7ff80000
	s_xor_b64 exec, exec, s[14:15]
; %bb.1448:
	v_cmp_ne_u16_e32 vcc, 0, v3
	v_mov_b32_e32 v15, 0
	s_andn2_b64 s[12:13], s[12:13], exec
	s_and_b64 s[16:17], vcc, exec
	v_mov_b32_e32 v16, 0
	s_or_b64 s[12:13], s[12:13], s[16:17]
; %bb.1449:
	s_or_b64 exec, exec, s[14:15]
	s_and_saveexec_b64 s[14:15], s[12:13]
	s_cbranch_execz .LBB7_1451
; %bb.1450:
	v_lshlrev_b32_e32 v9, 24, v3
	v_and_b32_e32 v3, 0xffff, v3
	v_and_b32_e32 v11, 7, v3
	v_ffbh_u32_e32 v15, v11
	v_min_u32_e32 v15, 32, v15
	v_subrev_u32_e32 v16, 28, v15
	v_bfe_u32 v13, v3, 3, 4
	v_lshlrev_b32_e32 v3, v16, v3
	v_sub_u32_e32 v15, 29, v15
	v_and_b32_e32 v3, 7, v3
	v_cmp_eq_u32_e32 vcc, 0, v13
	v_cndmask_b32_e32 v13, v13, v15, vcc
	v_cndmask_b32_e32 v3, v11, v3, vcc
	v_mov_b32_e32 v11, 0x3b800000
	v_lshlrev_b32_e32 v3, 20, v3
	v_and_b32_e32 v9, 0x80000000, v9
	v_lshl_add_u32 v11, v13, 23, v11
	v_or3_b32 v3, v9, v11, v3
	v_cvt_f64_f32_e32 v[15:16], v3
.LBB7_1451:
	s_or_b64 exec, exec, s[14:15]
.LBB7_1452:
	s_mov_b64 s[12:13], -1
.LBB7_1453:
	s_mov_b64 s[14:15], 0
.LBB7_1454:
	s_and_b64 vcc, exec, s[14:15]
	s_cbranch_vccz .LBB7_1485
; %bb.1455:
	s_cmp_gt_i32 s19, 22
	s_cbranch_scc0 .LBB7_1467
; %bb.1456:
	s_cmp_lt_i32 s19, 24
	s_cbranch_scc1 .LBB7_1468
; %bb.1457:
	s_cmp_gt_i32 s19, 24
	s_cbranch_scc0 .LBB7_1469
; %bb.1458:
	global_load_ubyte v3, v[1:2], off
	s_movk_i32 s6, 0x7f
	s_waitcnt vmcnt(0)
	v_cmp_lt_i16_e32 vcc, s6, v3
	s_mov_b64 s[6:7], 0
	s_and_saveexec_b64 s[12:13], vcc
	s_xor_b64 s[12:13], exec, s[12:13]
	s_cbranch_execz .LBB7_1462
; %bb.1459:
	s_movk_i32 s6, 0x80
	v_cmp_eq_u16_e32 vcc, s6, v3
	s_mov_b64 s[6:7], -1
	s_and_saveexec_b64 s[14:15], vcc
; %bb.1460:
	s_xor_b64 s[6:7], exec, -1
; %bb.1461:
	s_or_b64 exec, exec, s[14:15]
	s_and_b64 s[6:7], s[6:7], exec
.LBB7_1462:
	s_or_saveexec_b64 s[12:13], s[12:13]
	v_bfrev_b32_e32 v15, 4
	v_mov_b32_e32 v16, 0x7ff80000
	s_xor_b64 exec, exec, s[12:13]
; %bb.1463:
	v_cmp_ne_u16_e32 vcc, 0, v3
	v_mov_b32_e32 v15, 0
	s_andn2_b64 s[6:7], s[6:7], exec
	s_and_b64 s[14:15], vcc, exec
	v_mov_b32_e32 v16, 0
	s_or_b64 s[6:7], s[6:7], s[14:15]
; %bb.1464:
	s_or_b64 exec, exec, s[12:13]
	s_and_saveexec_b64 s[12:13], s[6:7]
	s_cbranch_execz .LBB7_1466
; %bb.1465:
	v_lshlrev_b32_e32 v9, 24, v3
	v_and_b32_e32 v3, 0xffff, v3
	v_and_b32_e32 v11, 3, v3
	v_ffbh_u32_e32 v15, v11
	v_min_u32_e32 v15, 32, v15
	v_subrev_u32_e32 v16, 29, v15
	v_bfe_u32 v13, v3, 2, 5
	v_lshlrev_b32_e32 v3, v16, v3
	v_sub_u32_e32 v15, 30, v15
	v_and_b32_e32 v3, 3, v3
	v_cmp_eq_u32_e32 vcc, 0, v13
	v_cndmask_b32_e32 v13, v13, v15, vcc
	v_cndmask_b32_e32 v3, v11, v3, vcc
	v_mov_b32_e32 v11, 0x37800000
	v_lshlrev_b32_e32 v3, 21, v3
	v_and_b32_e32 v9, 0x80000000, v9
	v_lshl_add_u32 v11, v13, 23, v11
	v_or3_b32 v3, v9, v11, v3
	v_cvt_f64_f32_e32 v[15:16], v3
.LBB7_1466:
	s_or_b64 exec, exec, s[12:13]
	s_mov_b64 s[6:7], 0
	s_branch .LBB7_1470
.LBB7_1467:
	s_mov_b64 s[6:7], -1
                                        ; implicit-def: $vgpr15_vgpr16
	s_branch .LBB7_1476
.LBB7_1468:
	s_mov_b64 s[6:7], -1
                                        ; implicit-def: $vgpr15_vgpr16
	s_branch .LBB7_1473
.LBB7_1469:
	s_mov_b64 s[6:7], -1
                                        ; implicit-def: $vgpr15_vgpr16
.LBB7_1470:
	s_and_b64 vcc, exec, s[6:7]
	s_cbranch_vccz .LBB7_1472
; %bb.1471:
	global_load_ubyte v3, v[1:2], off
	s_mov_b32 s6, 0x7f800000
	s_waitcnt vmcnt(0)
	v_lshlrev_b32_e32 v3, 24, v3
	v_and_b32_e32 v9, 0x7f000000, v3
	v_ffbh_u32_e32 v11, v9
	v_min_u32_e32 v11, 32, v11
	v_sub_u32_e64 v11, v11, 4 clamp
	v_lshlrev_b32_e32 v15, v11, v9
	v_lshlrev_b32_e32 v11, 23, v11
	v_lshrrev_b32_e32 v15, 4, v15
	v_add_u32_e32 v13, 0x1000000, v9
	v_sub_u32_e32 v11, v15, v11
	v_ashrrev_i32_e32 v13, 8, v13
	v_add_u32_e32 v11, 0x3c000000, v11
	v_and_or_b32 v11, v13, s6, v11
	v_cmp_ne_u32_e32 vcc, 0, v9
	v_cndmask_b32_e32 v9, 0, v11, vcc
	s_brev_b32 s6, 1
	v_and_or_b32 v3, v3, s6, v9
	v_cvt_f64_f32_e32 v[15:16], v3
.LBB7_1472:
	s_mov_b64 s[6:7], 0
.LBB7_1473:
	s_andn2_b64 vcc, exec, s[6:7]
	s_cbranch_vccnz .LBB7_1475
; %bb.1474:
	global_load_ubyte v3, v[1:2], off
	s_movk_i32 s6, 0x7f00
	s_brev_b32 s7, 16
	s_waitcnt vmcnt(0)
	v_lshlrev_b16_e32 v9, 8, v3
	v_lshlrev_b32_e32 v3, 25, v3
	v_lshrrev_b32_e32 v11, 4, v3
	v_and_or_b32 v13, v9, s6, 0.5
	v_or_b32_e32 v11, 0x70000000, v11
	v_add_f32_e32 v13, -0.5, v13
	v_mul_f32_e32 v11, 0x7800000, v11
	v_cmp_gt_u32_e32 vcc, s7, v3
	v_bfe_i32 v9, v9, 0, 16
	v_cndmask_b32_e32 v3, v11, v13, vcc
	s_brev_b32 s6, 1
	v_and_or_b32 v3, v9, s6, v3
	v_cvt_f64_f32_e32 v[15:16], v3
.LBB7_1475:
	s_mov_b64 s[6:7], 0
	s_mov_b64 s[12:13], -1
.LBB7_1476:
	s_andn2_b64 vcc, exec, s[6:7]
	s_mov_b64 s[6:7], 0
	s_cbranch_vccnz .LBB7_1485
; %bb.1477:
	s_cmp_gt_i32 s19, 14
	s_cbranch_scc0 .LBB7_1480
; %bb.1478:
	s_cmp_eq_u32 s19, 15
	s_cbranch_scc0 .LBB7_1481
; %bb.1479:
	global_load_ushort v3, v[1:2], off
	s_mov_b64 s[4:5], 0
	s_mov_b64 s[12:13], -1
	s_waitcnt vmcnt(0)
	v_lshlrev_b32_e32 v3, 16, v3
	v_cvt_f64_f32_e32 v[15:16], v3
	s_branch .LBB7_1482
.LBB7_1480:
	s_mov_b64 s[14:15], -1
                                        ; implicit-def: $vgpr15_vgpr16
	s_branch .LBB7_1483
.LBB7_1481:
	s_mov_b64 s[4:5], -1
                                        ; implicit-def: $vgpr15_vgpr16
.LBB7_1482:
	s_mov_b64 s[14:15], 0
.LBB7_1483:
	s_and_b64 vcc, exec, s[14:15]
	s_cbranch_vccz .LBB7_1485
; %bb.1484:
	s_cmp_lg_u32 s19, 11
	s_mov_b64 s[6:7], -1
	s_cselect_b64 s[4:5], -1, 0
.LBB7_1485:
	s_and_b64 vcc, exec, s[4:5]
	s_cbranch_vccnz .LBB7_1550
; %bb.1486:
	s_andn2_b64 vcc, exec, s[6:7]
	s_cbranch_vccnz .LBB7_1488
.LBB7_1487:
	global_load_ubyte v3, v[1:2], off
	v_mov_b32_e32 v9, 0x3ff00000
	v_mov_b32_e32 v15, 0
	s_mov_b64 s[12:13], -1
	s_waitcnt vmcnt(0)
	v_cmp_ne_u16_e32 vcc, 0, v3
	v_cndmask_b32_e32 v16, 0, v9, vcc
.LBB7_1488:
	s_branch .LBB7_1416
.LBB7_1489:
	s_and_b32 s6, 0xffff, s18
	s_cmp_lt_i32 s6, 5
	s_cbranch_scc1 .LBB7_1494
; %bb.1490:
	s_cmp_lt_i32 s6, 8
	s_cbranch_scc1 .LBB7_1495
; %bb.1491:
	;; [unrolled: 3-line block ×3, first 2 shown]
	s_cmp_gt_i32 s6, 9
	s_cbranch_scc0 .LBB7_1497
; %bb.1493:
	global_load_dwordx2 v[15:16], v[1:2], off
	s_mov_b64 s[4:5], 0
	s_branch .LBB7_1498
.LBB7_1494:
	s_mov_b64 s[4:5], -1
                                        ; implicit-def: $vgpr15_vgpr16
	s_branch .LBB7_1516
.LBB7_1495:
	s_mov_b64 s[4:5], -1
                                        ; implicit-def: $vgpr15_vgpr16
	s_branch .LBB7_1504
.LBB7_1496:
	s_mov_b64 s[4:5], -1
                                        ; implicit-def: $vgpr15_vgpr16
	s_branch .LBB7_1501
.LBB7_1497:
	s_mov_b64 s[4:5], -1
                                        ; implicit-def: $vgpr15_vgpr16
.LBB7_1498:
	s_andn2_b64 vcc, exec, s[4:5]
	s_cbranch_vccnz .LBB7_1500
; %bb.1499:
	global_load_dword v3, v[1:2], off
	s_waitcnt vmcnt(0)
	v_cvt_f64_f32_e32 v[15:16], v3
.LBB7_1500:
	s_mov_b64 s[4:5], 0
.LBB7_1501:
	s_andn2_b64 vcc, exec, s[4:5]
	s_cbranch_vccnz .LBB7_1503
; %bb.1502:
	global_load_dword v3, v[1:2], off
	s_waitcnt vmcnt(0)
	v_cvt_f32_f16_e32 v3, v3
	v_cvt_f64_f32_e32 v[15:16], v3
.LBB7_1503:
	s_mov_b64 s[4:5], 0
.LBB7_1504:
	s_andn2_b64 vcc, exec, s[4:5]
	s_cbranch_vccnz .LBB7_1515
; %bb.1505:
	s_cmp_lt_i32 s6, 6
	s_cbranch_scc1 .LBB7_1508
; %bb.1506:
	s_cmp_gt_i32 s6, 6
	s_cbranch_scc0 .LBB7_1509
; %bb.1507:
	global_load_dwordx2 v[15:16], v[1:2], off
	s_mov_b64 s[4:5], 0
	s_branch .LBB7_1510
.LBB7_1508:
	s_mov_b64 s[4:5], -1
                                        ; implicit-def: $vgpr15_vgpr16
	s_branch .LBB7_1513
.LBB7_1509:
	s_mov_b64 s[4:5], -1
                                        ; implicit-def: $vgpr15_vgpr16
.LBB7_1510:
	s_andn2_b64 vcc, exec, s[4:5]
	s_cbranch_vccnz .LBB7_1512
; %bb.1511:
	global_load_dword v3, v[1:2], off
	s_waitcnt vmcnt(0)
	v_cvt_f64_f32_e32 v[15:16], v3
.LBB7_1512:
	s_mov_b64 s[4:5], 0
.LBB7_1513:
	s_andn2_b64 vcc, exec, s[4:5]
	s_cbranch_vccnz .LBB7_1515
; %bb.1514:
	global_load_ushort v3, v[1:2], off
	s_waitcnt vmcnt(0)
	v_cvt_f32_f16_e32 v3, v3
	v_cvt_f64_f32_e32 v[15:16], v3
.LBB7_1515:
	s_mov_b64 s[4:5], 0
.LBB7_1516:
	s_andn2_b64 vcc, exec, s[4:5]
	s_cbranch_vccnz .LBB7_1536
; %bb.1517:
	s_cmp_lt_i32 s6, 2
	s_cbranch_scc1 .LBB7_1521
; %bb.1518:
	s_cmp_lt_i32 s6, 3
	s_cbranch_scc1 .LBB7_1522
; %bb.1519:
	s_cmp_gt_i32 s6, 3
	s_cbranch_scc0 .LBB7_1523
; %bb.1520:
	global_load_dwordx2 v[15:16], v[1:2], off
	s_mov_b64 s[4:5], 0
	s_waitcnt vmcnt(0)
	v_cvt_f64_i32_e32 v[16:17], v16
	v_cvt_f64_u32_e32 v[18:19], v15
	v_ldexp_f64 v[16:17], v[16:17], 32
	v_add_f64 v[15:16], v[16:17], v[18:19]
	s_branch .LBB7_1524
.LBB7_1521:
	s_mov_b64 s[4:5], -1
                                        ; implicit-def: $vgpr15_vgpr16
	s_branch .LBB7_1530
.LBB7_1522:
	s_mov_b64 s[4:5], -1
                                        ; implicit-def: $vgpr15_vgpr16
	s_branch .LBB7_1527
.LBB7_1523:
	s_mov_b64 s[4:5], -1
                                        ; implicit-def: $vgpr15_vgpr16
.LBB7_1524:
	s_andn2_b64 vcc, exec, s[4:5]
	s_cbranch_vccnz .LBB7_1526
; %bb.1525:
	global_load_dword v3, v[1:2], off
	s_waitcnt vmcnt(0)
	v_cvt_f64_i32_e32 v[15:16], v3
.LBB7_1526:
	s_mov_b64 s[4:5], 0
.LBB7_1527:
	s_andn2_b64 vcc, exec, s[4:5]
	s_cbranch_vccnz .LBB7_1529
; %bb.1528:
	global_load_sshort v3, v[1:2], off
	s_waitcnt vmcnt(0)
	v_cvt_f64_i32_e32 v[15:16], v3
.LBB7_1529:
	s_mov_b64 s[4:5], 0
.LBB7_1530:
	s_andn2_b64 vcc, exec, s[4:5]
	s_cbranch_vccnz .LBB7_1536
; %bb.1531:
	s_cmp_gt_i32 s6, 0
	s_cbranch_scc0 .LBB7_1533
; %bb.1532:
	global_load_sbyte v3, v[1:2], off
	s_mov_b64 s[4:5], 0
	s_waitcnt vmcnt(0)
	v_cvt_f64_i32_e32 v[15:16], v3
	s_branch .LBB7_1534
.LBB7_1533:
	s_mov_b64 s[4:5], -1
                                        ; implicit-def: $vgpr15_vgpr16
.LBB7_1534:
	s_andn2_b64 vcc, exec, s[4:5]
	s_cbranch_vccnz .LBB7_1536
; %bb.1535:
	global_load_ubyte v1, v[1:2], off
	s_waitcnt vmcnt(0)
	v_cvt_f64_u32_e32 v[15:16], v1
.LBB7_1536:
.LBB7_1537:
	s_waitcnt vmcnt(0)
	v_cmp_lt_f64_e32 vcc, s[0:1], v[15:16]
	v_mov_b32_e32 v2, 0
	v_mov_b32_e32 v3, 0x3ff00000
	s_and_saveexec_b64 s[4:5], vcc
	s_cbranch_execz .LBB7_1539
; %bb.1538:
	s_mov_b32 s6, 0x9abcaf48
	s_mov_b32 s7, 0x3e7ad7f2
	v_add_f64 v[1:2], v[15:16], s[6:7]
	v_div_scale_f64 v[15:16], s[6:7], v[1:2], v[1:2], s[0:1]
	v_div_scale_f64 v[21:22], vcc, s[0:1], v[1:2], s[0:1]
	v_rcp_f64_e32 v[17:18], v[15:16]
	v_fma_f64 v[19:20], -v[15:16], v[17:18], 1.0
	v_fma_f64 v[17:18], v[17:18], v[19:20], v[17:18]
	v_fma_f64 v[19:20], -v[15:16], v[17:18], 1.0
	v_fma_f64 v[17:18], v[17:18], v[19:20], v[17:18]
	v_mul_f64 v[19:20], v[21:22], v[17:18]
	v_fma_f64 v[15:16], -v[15:16], v[19:20], v[21:22]
	v_div_fmas_f64 v[15:16], v[15:16], v[17:18], v[19:20]
	v_div_fixup_f64 v[2:3], v[15:16], v[1:2], s[0:1]
.LBB7_1539:
	s_or_b64 exec, exec, s[4:5]
	v_mov_b32_e32 v1, s11
	v_add_co_u32_e32 v0, vcc, s10, v0
	s_cmp_lt_i32 s18, 11
	v_addc_co_u32_e32 v1, vcc, 0, v1, vcc
	s_cbranch_scc1 .LBB7_1546
; %bb.1540:
	s_and_b32 s16, 0xffff, s18
	s_cmp_gt_i32 s16, 25
	s_mov_b64 s[6:7], 0
	s_cbranch_scc0 .LBB7_1547
; %bb.1541:
	s_cmp_gt_i32 s16, 28
	s_cbranch_scc0 .LBB7_1548
; %bb.1542:
	s_cmp_gt_i32 s16, 43
	;; [unrolled: 3-line block ×3, first 2 shown]
	s_cbranch_scc0 .LBB7_1551
; %bb.1544:
	s_cmp_eq_u32 s16, 46
	s_mov_b64 s[12:13], 0
	s_cbranch_scc0 .LBB7_1552
; %bb.1545:
	global_load_dword v9, v[0:1], off
	s_mov_b64 s[4:5], 0
	s_mov_b64 s[10:11], -1
	s_waitcnt vmcnt(0)
	v_lshlrev_b32_e32 v9, 16, v9
	v_cvt_f64_f32_e32 v[15:16], v9
	s_branch .LBB7_1553
.LBB7_1546:
	s_mov_b64 s[4:5], -1
	s_mov_b64 s[10:11], 0
                                        ; implicit-def: $vgpr15_vgpr16
	s_branch .LBB7_1619
.LBB7_1547:
	s_mov_b64 s[12:13], -1
	s_mov_b64 s[10:11], 0
	s_mov_b64 s[4:5], 0
                                        ; implicit-def: $vgpr15_vgpr16
	s_branch .LBB7_1584
.LBB7_1548:
	s_mov_b64 s[12:13], -1
	s_mov_b64 s[10:11], 0
	s_mov_b64 s[4:5], 0
                                        ; implicit-def: $vgpr15_vgpr16
	s_branch .LBB7_1563
.LBB7_1549:
	s_mov_b64 s[12:13], -1
	s_mov_b64 s[10:11], 0
	s_mov_b64 s[4:5], 0
                                        ; implicit-def: $vgpr15_vgpr16
	s_branch .LBB7_1558
.LBB7_1550:
	s_trap 2
	s_or_b64 s[2:3], s[2:3], exec
	s_cbranch_execz .LBB7_1487
	s_branch .LBB7_1488
.LBB7_1551:
	s_mov_b64 s[12:13], -1
	s_mov_b64 s[10:11], 0
	s_mov_b64 s[4:5], 0
                                        ; implicit-def: $vgpr15_vgpr16
	s_branch .LBB7_1553
.LBB7_1552:
	s_mov_b64 s[4:5], -1
                                        ; implicit-def: $vgpr15_vgpr16
	s_mov_b64 s[10:11], 0
.LBB7_1553:
	s_and_b64 vcc, exec, s[12:13]
	s_cbranch_vccz .LBB7_1557
; %bb.1554:
	s_cmp_eq_u32 s16, 44
	s_cbranch_scc0 .LBB7_1556
; %bb.1555:
	global_load_ubyte v9, v[0:1], off
	s_movk_i32 s10, 0xff
	v_bfrev_b32_e32 v11, 4
	v_mov_b32_e32 v13, 0x7ff80000
	v_bfrev_b32_e32 v17, 28
	s_mov_b64 s[4:5], 0
	s_waitcnt vmcnt(0)
	v_lshlrev_b32_e32 v15, 23, v9
	v_cvt_f64_f32_e32 v[15:16], v15
	v_cmp_ne_u32_e32 vcc, s10, v9
	s_mov_b64 s[10:11], -1
	v_cndmask_b32_e32 v11, v11, v15, vcc
	v_cndmask_b32_e32 v13, v13, v16, vcc
	v_cmp_ne_u32_e32 vcc, 0, v9
	v_cndmask_b32_e32 v16, v17, v13, vcc
	v_cndmask_b32_e32 v15, 0, v11, vcc
	s_branch .LBB7_1557
.LBB7_1556:
	s_mov_b64 s[4:5], -1
                                        ; implicit-def: $vgpr15_vgpr16
.LBB7_1557:
	s_mov_b64 s[12:13], 0
.LBB7_1558:
	s_and_b64 vcc, exec, s[12:13]
	s_cbranch_vccz .LBB7_1562
; %bb.1559:
	s_cmp_eq_u32 s16, 29
	s_cbranch_scc0 .LBB7_1561
; %bb.1560:
	global_load_dwordx2 v[15:16], v[0:1], off
	s_mov_b64 s[4:5], 0
	s_mov_b64 s[10:11], -1
	s_mov_b64 s[12:13], 0
	s_waitcnt vmcnt(0)
	v_cvt_f64_u32_e32 v[16:17], v16
	v_cvt_f64_u32_e32 v[18:19], v15
	v_ldexp_f64 v[16:17], v[16:17], 32
	v_add_f64 v[15:16], v[16:17], v[18:19]
	s_branch .LBB7_1563
.LBB7_1561:
	s_mov_b64 s[4:5], -1
                                        ; implicit-def: $vgpr15_vgpr16
.LBB7_1562:
	s_mov_b64 s[12:13], 0
.LBB7_1563:
	s_and_b64 vcc, exec, s[12:13]
	s_cbranch_vccz .LBB7_1583
; %bb.1564:
	s_cmp_lt_i32 s16, 27
	s_cbranch_scc1 .LBB7_1567
; %bb.1565:
	s_cmp_gt_i32 s16, 27
	s_cbranch_scc0 .LBB7_1568
; %bb.1566:
	global_load_dword v9, v[0:1], off
	s_mov_b64 s[10:11], 0
	s_waitcnt vmcnt(0)
	v_cvt_f64_u32_e32 v[15:16], v9
	s_branch .LBB7_1569
.LBB7_1567:
	s_mov_b64 s[10:11], -1
                                        ; implicit-def: $vgpr15_vgpr16
	s_branch .LBB7_1572
.LBB7_1568:
	s_mov_b64 s[10:11], -1
                                        ; implicit-def: $vgpr15_vgpr16
.LBB7_1569:
	s_andn2_b64 vcc, exec, s[10:11]
	s_cbranch_vccnz .LBB7_1571
; %bb.1570:
	global_load_ushort v9, v[0:1], off
	s_waitcnt vmcnt(0)
	v_cvt_f64_u32_e32 v[15:16], v9
.LBB7_1571:
	s_mov_b64 s[10:11], 0
.LBB7_1572:
	s_andn2_b64 vcc, exec, s[10:11]
	s_cbranch_vccnz .LBB7_1582
; %bb.1573:
	global_load_ubyte v9, v[0:1], off
	s_movk_i32 s10, 0x7f
	s_waitcnt vmcnt(0)
	v_cmp_lt_i16_e32 vcc, s10, v9
	s_mov_b64 s[10:11], 0
	s_and_saveexec_b64 s[12:13], vcc
	s_xor_b64 s[12:13], exec, s[12:13]
	s_cbranch_execz .LBB7_1577
; %bb.1574:
	s_movk_i32 s10, 0x80
	v_cmp_eq_u16_e32 vcc, s10, v9
	s_mov_b64 s[10:11], -1
	s_and_saveexec_b64 s[14:15], vcc
; %bb.1575:
	s_xor_b64 s[10:11], exec, -1
; %bb.1576:
	s_or_b64 exec, exec, s[14:15]
	s_and_b64 s[10:11], s[10:11], exec
.LBB7_1577:
	s_or_saveexec_b64 s[12:13], s[12:13]
	v_bfrev_b32_e32 v15, 4
	v_mov_b32_e32 v16, 0x7ff80000
	s_xor_b64 exec, exec, s[12:13]
; %bb.1578:
	v_cmp_ne_u16_e32 vcc, 0, v9
	v_mov_b32_e32 v15, 0
	s_andn2_b64 s[10:11], s[10:11], exec
	s_and_b64 s[14:15], vcc, exec
	v_mov_b32_e32 v16, 0
	s_or_b64 s[10:11], s[10:11], s[14:15]
; %bb.1579:
	s_or_b64 exec, exec, s[12:13]
	s_and_saveexec_b64 s[12:13], s[10:11]
	s_cbranch_execz .LBB7_1581
; %bb.1580:
	v_lshlrev_b32_e32 v11, 24, v9
	v_and_b32_e32 v9, 0xffff, v9
	v_and_b32_e32 v13, 7, v9
	v_ffbh_u32_e32 v16, v13
	v_min_u32_e32 v16, 32, v16
	v_subrev_u32_e32 v17, 28, v16
	v_bfe_u32 v15, v9, 3, 4
	v_lshlrev_b32_e32 v9, v17, v9
	v_sub_u32_e32 v16, 29, v16
	v_and_b32_e32 v9, 7, v9
	v_cmp_eq_u32_e32 vcc, 0, v15
	v_cndmask_b32_e32 v15, v15, v16, vcc
	v_cndmask_b32_e32 v9, v13, v9, vcc
	v_mov_b32_e32 v13, 0x3b800000
	v_lshlrev_b32_e32 v9, 20, v9
	v_and_b32_e32 v11, 0x80000000, v11
	v_lshl_add_u32 v13, v15, 23, v13
	v_or3_b32 v9, v11, v13, v9
	v_cvt_f64_f32_e32 v[15:16], v9
.LBB7_1581:
	s_or_b64 exec, exec, s[12:13]
.LBB7_1582:
	s_mov_b64 s[10:11], -1
.LBB7_1583:
	s_mov_b64 s[12:13], 0
.LBB7_1584:
	s_and_b64 vcc, exec, s[12:13]
	s_cbranch_vccz .LBB7_1615
; %bb.1585:
	s_cmp_gt_i32 s16, 22
	s_cbranch_scc0 .LBB7_1597
; %bb.1586:
	s_cmp_lt_i32 s16, 24
	s_cbranch_scc1 .LBB7_1598
; %bb.1587:
	s_cmp_gt_i32 s16, 24
	s_cbranch_scc0 .LBB7_1599
; %bb.1588:
	global_load_ubyte v9, v[0:1], off
	s_movk_i32 s6, 0x7f
	s_waitcnt vmcnt(0)
	v_cmp_lt_i16_e32 vcc, s6, v9
	s_mov_b64 s[6:7], 0
	s_and_saveexec_b64 s[10:11], vcc
	s_xor_b64 s[10:11], exec, s[10:11]
	s_cbranch_execz .LBB7_1592
; %bb.1589:
	s_movk_i32 s6, 0x80
	v_cmp_eq_u16_e32 vcc, s6, v9
	s_mov_b64 s[6:7], -1
	s_and_saveexec_b64 s[12:13], vcc
; %bb.1590:
	s_xor_b64 s[6:7], exec, -1
; %bb.1591:
	s_or_b64 exec, exec, s[12:13]
	s_and_b64 s[6:7], s[6:7], exec
.LBB7_1592:
	s_or_saveexec_b64 s[10:11], s[10:11]
	v_bfrev_b32_e32 v15, 4
	v_mov_b32_e32 v16, 0x7ff80000
	s_xor_b64 exec, exec, s[10:11]
; %bb.1593:
	v_cmp_ne_u16_e32 vcc, 0, v9
	v_mov_b32_e32 v15, 0
	s_andn2_b64 s[6:7], s[6:7], exec
	s_and_b64 s[12:13], vcc, exec
	v_mov_b32_e32 v16, 0
	s_or_b64 s[6:7], s[6:7], s[12:13]
; %bb.1594:
	s_or_b64 exec, exec, s[10:11]
	s_and_saveexec_b64 s[10:11], s[6:7]
	s_cbranch_execz .LBB7_1596
; %bb.1595:
	v_lshlrev_b32_e32 v11, 24, v9
	v_and_b32_e32 v9, 0xffff, v9
	v_and_b32_e32 v13, 3, v9
	v_ffbh_u32_e32 v16, v13
	v_min_u32_e32 v16, 32, v16
	v_subrev_u32_e32 v17, 29, v16
	v_bfe_u32 v15, v9, 2, 5
	v_lshlrev_b32_e32 v9, v17, v9
	v_sub_u32_e32 v16, 30, v16
	v_and_b32_e32 v9, 3, v9
	v_cmp_eq_u32_e32 vcc, 0, v15
	v_cndmask_b32_e32 v15, v15, v16, vcc
	v_cndmask_b32_e32 v9, v13, v9, vcc
	v_mov_b32_e32 v13, 0x37800000
	v_lshlrev_b32_e32 v9, 21, v9
	v_and_b32_e32 v11, 0x80000000, v11
	v_lshl_add_u32 v13, v15, 23, v13
	v_or3_b32 v9, v11, v13, v9
	v_cvt_f64_f32_e32 v[15:16], v9
.LBB7_1596:
	s_or_b64 exec, exec, s[10:11]
	s_mov_b64 s[6:7], 0
	s_branch .LBB7_1600
.LBB7_1597:
	s_mov_b64 s[6:7], -1
                                        ; implicit-def: $vgpr15_vgpr16
	s_branch .LBB7_1606
.LBB7_1598:
	s_mov_b64 s[6:7], -1
                                        ; implicit-def: $vgpr15_vgpr16
	s_branch .LBB7_1603
.LBB7_1599:
	s_mov_b64 s[6:7], -1
                                        ; implicit-def: $vgpr15_vgpr16
.LBB7_1600:
	s_and_b64 vcc, exec, s[6:7]
	s_cbranch_vccz .LBB7_1602
; %bb.1601:
	global_load_ubyte v9, v[0:1], off
	s_mov_b32 s6, 0x7f800000
	s_waitcnt vmcnt(0)
	v_lshlrev_b32_e32 v9, 24, v9
	v_and_b32_e32 v11, 0x7f000000, v9
	v_ffbh_u32_e32 v13, v11
	v_min_u32_e32 v13, 32, v13
	v_sub_u32_e64 v13, v13, 4 clamp
	v_lshlrev_b32_e32 v16, v13, v11
	v_lshlrev_b32_e32 v13, 23, v13
	v_lshrrev_b32_e32 v16, 4, v16
	v_add_u32_e32 v15, 0x1000000, v11
	v_sub_u32_e32 v13, v16, v13
	v_ashrrev_i32_e32 v15, 8, v15
	v_add_u32_e32 v13, 0x3c000000, v13
	v_and_or_b32 v13, v15, s6, v13
	v_cmp_ne_u32_e32 vcc, 0, v11
	v_cndmask_b32_e32 v11, 0, v13, vcc
	s_brev_b32 s6, 1
	v_and_or_b32 v9, v9, s6, v11
	v_cvt_f64_f32_e32 v[15:16], v9
.LBB7_1602:
	s_mov_b64 s[6:7], 0
.LBB7_1603:
	s_andn2_b64 vcc, exec, s[6:7]
	s_cbranch_vccnz .LBB7_1605
; %bb.1604:
	global_load_ubyte v9, v[0:1], off
	s_movk_i32 s6, 0x7f00
	s_brev_b32 s7, 16
	s_waitcnt vmcnt(0)
	v_lshlrev_b16_e32 v11, 8, v9
	v_lshlrev_b32_e32 v9, 25, v9
	v_lshrrev_b32_e32 v13, 4, v9
	v_and_or_b32 v15, v11, s6, 0.5
	v_or_b32_e32 v13, 0x70000000, v13
	v_add_f32_e32 v15, -0.5, v15
	v_mul_f32_e32 v13, 0x7800000, v13
	v_cmp_gt_u32_e32 vcc, s7, v9
	v_bfe_i32 v11, v11, 0, 16
	v_cndmask_b32_e32 v9, v13, v15, vcc
	s_brev_b32 s6, 1
	v_and_or_b32 v9, v11, s6, v9
	v_cvt_f64_f32_e32 v[15:16], v9
.LBB7_1605:
	s_mov_b64 s[6:7], 0
	s_mov_b64 s[10:11], -1
.LBB7_1606:
	s_andn2_b64 vcc, exec, s[6:7]
	s_mov_b64 s[6:7], 0
	s_cbranch_vccnz .LBB7_1615
; %bb.1607:
	s_cmp_gt_i32 s16, 14
	s_cbranch_scc0 .LBB7_1610
; %bb.1608:
	s_cmp_eq_u32 s16, 15
	s_cbranch_scc0 .LBB7_1611
; %bb.1609:
	global_load_ushort v9, v[0:1], off
	s_mov_b64 s[4:5], 0
	s_mov_b64 s[10:11], -1
	s_waitcnt vmcnt(0)
	v_lshlrev_b32_e32 v9, 16, v9
	v_cvt_f64_f32_e32 v[15:16], v9
	s_branch .LBB7_1612
.LBB7_1610:
	s_mov_b64 s[12:13], -1
                                        ; implicit-def: $vgpr15_vgpr16
	s_branch .LBB7_1613
.LBB7_1611:
	s_mov_b64 s[4:5], -1
                                        ; implicit-def: $vgpr15_vgpr16
.LBB7_1612:
	s_mov_b64 s[12:13], 0
.LBB7_1613:
	s_and_b64 vcc, exec, s[12:13]
	s_cbranch_vccz .LBB7_1615
; %bb.1614:
	s_cmp_lg_u32 s16, 11
	s_mov_b64 s[6:7], -1
	s_cselect_b64 s[4:5], -1, 0
.LBB7_1615:
	s_and_b64 vcc, exec, s[4:5]
	s_cbranch_vccnz .LBB7_2152
; %bb.1616:
	s_andn2_b64 vcc, exec, s[6:7]
	s_cbranch_vccnz .LBB7_1618
.LBB7_1617:
	global_load_ubyte v9, v[0:1], off
	v_mov_b32_e32 v11, 0x3ff00000
	v_mov_b32_e32 v15, 0
	s_mov_b64 s[10:11], -1
	s_waitcnt vmcnt(0)
	v_cmp_ne_u16_e32 vcc, 0, v9
	v_cndmask_b32_e32 v16, 0, v11, vcc
.LBB7_1618:
	s_mov_b64 s[4:5], 0
.LBB7_1619:
	s_and_b64 vcc, exec, s[4:5]
	s_cbranch_vccz .LBB7_1668
; %bb.1620:
	s_and_b32 s6, 0xffff, s18
	s_cmp_lt_i32 s6, 5
	s_cbranch_scc1 .LBB7_1625
; %bb.1621:
	s_cmp_lt_i32 s6, 8
	s_cbranch_scc1 .LBB7_1626
; %bb.1622:
	;; [unrolled: 3-line block ×3, first 2 shown]
	s_cmp_gt_i32 s6, 9
	s_cbranch_scc0 .LBB7_1628
; %bb.1624:
	global_load_dwordx2 v[15:16], v[0:1], off
	s_mov_b64 s[4:5], 0
	s_branch .LBB7_1629
.LBB7_1625:
	s_mov_b64 s[4:5], -1
                                        ; implicit-def: $vgpr15_vgpr16
	s_branch .LBB7_1647
.LBB7_1626:
	s_mov_b64 s[4:5], -1
                                        ; implicit-def: $vgpr15_vgpr16
	s_branch .LBB7_1635
.LBB7_1627:
	s_mov_b64 s[4:5], -1
                                        ; implicit-def: $vgpr15_vgpr16
	s_branch .LBB7_1632
.LBB7_1628:
	s_mov_b64 s[4:5], -1
                                        ; implicit-def: $vgpr15_vgpr16
.LBB7_1629:
	s_andn2_b64 vcc, exec, s[4:5]
	s_cbranch_vccnz .LBB7_1631
; %bb.1630:
	global_load_dword v9, v[0:1], off
	s_waitcnt vmcnt(0)
	v_cvt_f64_f32_e32 v[15:16], v9
.LBB7_1631:
	s_mov_b64 s[4:5], 0
.LBB7_1632:
	s_andn2_b64 vcc, exec, s[4:5]
	s_cbranch_vccnz .LBB7_1634
; %bb.1633:
	global_load_dword v9, v[0:1], off
	s_waitcnt vmcnt(0)
	v_cvt_f32_f16_e32 v9, v9
	v_cvt_f64_f32_e32 v[15:16], v9
.LBB7_1634:
	s_mov_b64 s[4:5], 0
.LBB7_1635:
	s_andn2_b64 vcc, exec, s[4:5]
	s_cbranch_vccnz .LBB7_1646
; %bb.1636:
	s_cmp_lt_i32 s6, 6
	s_cbranch_scc1 .LBB7_1639
; %bb.1637:
	s_cmp_gt_i32 s6, 6
	s_cbranch_scc0 .LBB7_1640
; %bb.1638:
	global_load_dwordx2 v[15:16], v[0:1], off
	s_mov_b64 s[4:5], 0
	s_branch .LBB7_1641
.LBB7_1639:
	s_mov_b64 s[4:5], -1
                                        ; implicit-def: $vgpr15_vgpr16
	s_branch .LBB7_1644
.LBB7_1640:
	s_mov_b64 s[4:5], -1
                                        ; implicit-def: $vgpr15_vgpr16
.LBB7_1641:
	s_andn2_b64 vcc, exec, s[4:5]
	s_cbranch_vccnz .LBB7_1643
; %bb.1642:
	global_load_dword v9, v[0:1], off
	s_waitcnt vmcnt(0)
	v_cvt_f64_f32_e32 v[15:16], v9
.LBB7_1643:
	s_mov_b64 s[4:5], 0
.LBB7_1644:
	s_andn2_b64 vcc, exec, s[4:5]
	s_cbranch_vccnz .LBB7_1646
; %bb.1645:
	global_load_ushort v9, v[0:1], off
	s_waitcnt vmcnt(0)
	v_cvt_f32_f16_e32 v9, v9
	v_cvt_f64_f32_e32 v[15:16], v9
.LBB7_1646:
	s_mov_b64 s[4:5], 0
.LBB7_1647:
	s_andn2_b64 vcc, exec, s[4:5]
	s_cbranch_vccnz .LBB7_1667
; %bb.1648:
	s_cmp_lt_i32 s6, 2
	s_cbranch_scc1 .LBB7_1652
; %bb.1649:
	s_cmp_lt_i32 s6, 3
	s_cbranch_scc1 .LBB7_1653
; %bb.1650:
	s_cmp_gt_i32 s6, 3
	s_cbranch_scc0 .LBB7_1654
; %bb.1651:
	global_load_dwordx2 v[15:16], v[0:1], off
	s_mov_b64 s[4:5], 0
	s_waitcnt vmcnt(0)
	v_cvt_f64_i32_e32 v[16:17], v16
	v_cvt_f64_u32_e32 v[18:19], v15
	v_ldexp_f64 v[16:17], v[16:17], 32
	v_add_f64 v[15:16], v[16:17], v[18:19]
	s_branch .LBB7_1655
.LBB7_1652:
	s_mov_b64 s[4:5], -1
                                        ; implicit-def: $vgpr15_vgpr16
	s_branch .LBB7_1661
.LBB7_1653:
	s_mov_b64 s[4:5], -1
                                        ; implicit-def: $vgpr15_vgpr16
	s_branch .LBB7_1658
.LBB7_1654:
	s_mov_b64 s[4:5], -1
                                        ; implicit-def: $vgpr15_vgpr16
.LBB7_1655:
	s_andn2_b64 vcc, exec, s[4:5]
	s_cbranch_vccnz .LBB7_1657
; %bb.1656:
	global_load_dword v9, v[0:1], off
	s_waitcnt vmcnt(0)
	v_cvt_f64_i32_e32 v[15:16], v9
.LBB7_1657:
	s_mov_b64 s[4:5], 0
.LBB7_1658:
	s_andn2_b64 vcc, exec, s[4:5]
	s_cbranch_vccnz .LBB7_1660
; %bb.1659:
	global_load_sshort v9, v[0:1], off
	s_waitcnt vmcnt(0)
	v_cvt_f64_i32_e32 v[15:16], v9
.LBB7_1660:
	s_mov_b64 s[4:5], 0
.LBB7_1661:
	s_andn2_b64 vcc, exec, s[4:5]
	s_cbranch_vccnz .LBB7_1667
; %bb.1662:
	s_cmp_gt_i32 s6, 0
	s_cbranch_scc0 .LBB7_1664
; %bb.1663:
	global_load_sbyte v9, v[0:1], off
	s_mov_b64 s[4:5], 0
	s_waitcnt vmcnt(0)
	v_cvt_f64_i32_e32 v[15:16], v9
	s_branch .LBB7_1665
.LBB7_1664:
	s_mov_b64 s[4:5], -1
                                        ; implicit-def: $vgpr15_vgpr16
.LBB7_1665:
	s_andn2_b64 vcc, exec, s[4:5]
	s_cbranch_vccnz .LBB7_1667
; %bb.1666:
	global_load_ubyte v0, v[0:1], off
	s_waitcnt vmcnt(0)
	v_cvt_f64_u32_e32 v[15:16], v0
.LBB7_1667:
	s_mov_b64 s[10:11], -1
.LBB7_1668:
	s_andn2_b64 vcc, exec, s[10:11]
	s_cbranch_vccnz .LBB7_1749
; %bb.1669:
	s_waitcnt vmcnt(0)
	v_cmp_lt_f64_e32 vcc, s[0:1], v[15:16]
	v_mov_b32_e32 v0, 0
	v_mov_b32_e32 v1, 0x3ff00000
	s_and_saveexec_b64 s[4:5], vcc
	s_cbranch_execz .LBB7_1671
; %bb.1670:
	s_mov_b32 s6, 0x9abcaf48
	s_mov_b32 s7, 0x3e7ad7f2
	v_add_f64 v[0:1], v[15:16], s[6:7]
	v_div_scale_f64 v[15:16], s[6:7], v[0:1], v[0:1], s[0:1]
	v_div_scale_f64 v[21:22], vcc, s[0:1], v[0:1], s[0:1]
	v_rcp_f64_e32 v[17:18], v[15:16]
	v_fma_f64 v[19:20], -v[15:16], v[17:18], 1.0
	v_fma_f64 v[17:18], v[17:18], v[19:20], v[17:18]
	v_fma_f64 v[19:20], -v[15:16], v[17:18], 1.0
	v_fma_f64 v[17:18], v[17:18], v[19:20], v[17:18]
	v_mul_f64 v[19:20], v[21:22], v[17:18]
	v_fma_f64 v[15:16], -v[15:16], v[19:20], v[21:22]
	v_div_fmas_f64 v[15:16], v[15:16], v[17:18], v[19:20]
	v_div_fixup_f64 v[0:1], v[15:16], v[0:1], s[0:1]
.LBB7_1671:
	s_or_b64 exec, exec, s[4:5]
	s_load_dword s0, s[34:35], 0x160
	v_mov_b32_e32 v9, s9
	v_add_co_u32_e32 v15, vcc, s8, v8
	v_addc_co_u32_e32 v16, vcc, 0, v9, vcc
	s_waitcnt lgkmcnt(0)
	s_and_b32 s14, s0, 0xff
	s_cmp_lt_i32 s14, 11
	s_cbranch_scc1 .LBB7_1795
; %bb.1672:
	s_and_b32 s15, 0xffff, s14
	s_mov_b64 s[10:11], -1
	s_mov_b64 s[4:5], 0
	s_cmp_gt_i32 s15, 25
	s_mov_b64 s[6:7], 0
	s_mov_b64 s[0:1], 0
	s_cbranch_scc0 .LBB7_1705
; %bb.1673:
	s_cmp_gt_i32 s15, 28
	s_cbranch_scc0 .LBB7_1688
; %bb.1674:
	s_cmp_gt_i32 s15, 43
	;; [unrolled: 3-line block ×3, first 2 shown]
	s_cbranch_scc0 .LBB7_1678
; %bb.1676:
	s_mov_b64 s[0:1], -1
	s_mov_b64 s[10:11], 0
	s_cmp_eq_u32 s15, 46
	s_cbranch_scc0 .LBB7_1678
; %bb.1677:
	v_cvt_f32_f64_e32 v8, v[6:7]
	s_movk_i32 s0, 0x7fff
	v_mov_b32_e32 v9, 0x7fc0
	s_mov_b64 s[6:7], -1
	v_bfe_u32 v11, v8, 16, 1
	v_cmp_o_f32_e32 vcc, v8, v8
	v_add3_u32 v8, v8, v11, s0
	v_cndmask_b32_sdwa v8, v9, v8, vcc dst_sel:DWORD dst_unused:UNUSED_PAD src0_sel:DWORD src1_sel:WORD_1
	global_store_dword v[15:16], v8, off
	s_mov_b64 s[0:1], 0
.LBB7_1678:
	s_and_b64 vcc, exec, s[10:11]
	s_cbranch_vccz .LBB7_1683
; %bb.1679:
	s_cmp_eq_u32 s15, 44
	s_mov_b64 s[0:1], -1
	s_cbranch_scc0 .LBB7_1683
; %bb.1680:
	v_cvt_f32_f64_e32 v8, v[6:7]
	s_movk_i32 s0, 0xff
	v_mov_b32_e32 v11, 0xff
	v_bfe_u32 v9, v8, 23, 8
	v_cmp_ne_u32_e32 vcc, s0, v9
	s_and_saveexec_b64 s[6:7], vcc
; %bb.1681:
	s_mov_b32 s0, 0x3fffff
	v_lshrrev_b32_e32 v11, 23, v8
	v_and_b32_e32 v13, 0x400000, v8
	v_and_or_b32 v8, v8, s0, v9
	v_cmp_ne_u32_e32 vcc, 0, v13
	v_cmp_ne_u32_e64 s[0:1], 0, v8
	s_and_b64 s[0:1], vcc, s[0:1]
	v_cndmask_b32_e64 v8, 0, 1, s[0:1]
	v_add_u32_e32 v11, v11, v8
; %bb.1682:
	s_or_b64 exec, exec, s[6:7]
	s_mov_b64 s[0:1], 0
	s_mov_b64 s[6:7], -1
	global_store_byte v[15:16], v11, off
.LBB7_1683:
	s_mov_b64 s[10:11], 0
.LBB7_1684:
	s_and_b64 vcc, exec, s[10:11]
	s_cbranch_vccz .LBB7_1687
; %bb.1685:
	s_cmp_eq_u32 s15, 29
	s_mov_b64 s[0:1], -1
	s_cbranch_scc0 .LBB7_1687
; %bb.1686:
	v_trunc_f64_e32 v[8:9], v[6:7]
	s_movk_i32 s0, 0xffe0
	s_mov_b64 s[6:7], -1
	v_ldexp_f64 v[17:18], v[8:9], s0
	s_mov_b32 s0, 0
	s_mov_b32 s1, 0xc1f00000
	v_floor_f64_e32 v[17:18], v[17:18]
	v_fma_f64 v[8:9], v[17:18], s[0:1], v[8:9]
	v_cvt_u32_f64_e32 v18, v[17:18]
	s_mov_b64 s[0:1], 0
	v_cvt_u32_f64_e32 v17, v[8:9]
	global_store_dwordx2 v[15:16], v[17:18], off
.LBB7_1687:
	s_mov_b64 s[10:11], 0
.LBB7_1688:
	s_and_b64 vcc, exec, s[10:11]
	s_cbranch_vccz .LBB7_1704
; %bb.1689:
	s_cmp_lt_i32 s15, 27
	s_mov_b64 s[6:7], -1
	s_cbranch_scc1 .LBB7_1695
; %bb.1690:
	v_cvt_u32_f64_e32 v8, v[6:7]
	s_cmp_gt_i32 s15, 27
	s_cbranch_scc0 .LBB7_1692
; %bb.1691:
	s_mov_b64 s[6:7], 0
	global_store_dword v[15:16], v8, off
.LBB7_1692:
	s_andn2_b64 vcc, exec, s[6:7]
	s_cbranch_vccnz .LBB7_1694
; %bb.1693:
	global_store_short v[15:16], v8, off
.LBB7_1694:
	s_mov_b64 s[6:7], 0
.LBB7_1695:
	s_andn2_b64 vcc, exec, s[6:7]
	s_cbranch_vccnz .LBB7_1703
; %bb.1696:
	v_cvt_f32_f64_e32 v8, v[6:7]
	s_mov_b32 s6, 0x43800000
	v_mov_b32_e32 v11, 0x80
	v_and_b32_e32 v9, 0x7fffffff, v8
	v_cmp_gt_u32_e32 vcc, s6, v9
	s_and_saveexec_b64 s[6:7], vcc
	s_cbranch_execz .LBB7_1702
; %bb.1697:
	s_mov_b32 s10, 0x3bffffff
	v_cmp_lt_u32_e32 vcc, s10, v9
	s_mov_b64 s[10:11], 0
                                        ; implicit-def: $vgpr9
	s_and_saveexec_b64 s[12:13], vcc
	s_xor_b64 s[12:13], exec, s[12:13]
	s_cbranch_execz .LBB7_2153
; %bb.1698:
	v_bfe_u32 v9, v8, 20, 1
	s_mov_b32 s16, 0x487ffff
	v_add3_u32 v9, v8, v9, s16
	s_mov_b64 s[10:11], exec
	v_lshrrev_b32_e32 v9, 20, v9
	s_andn2_saveexec_b64 s[12:13], s[12:13]
	s_cbranch_execnz .LBB7_2154
.LBB7_1699:
	s_or_b64 exec, exec, s[12:13]
	v_mov_b32_e32 v11, 0
	s_and_saveexec_b64 s[12:13], s[10:11]
.LBB7_1700:
	v_lshrrev_b32_e32 v8, 24, v8
	s_movk_i32 s10, 0x80
	v_and_or_b32 v11, v8, s10, v9
.LBB7_1701:
	s_or_b64 exec, exec, s[12:13]
.LBB7_1702:
	s_or_b64 exec, exec, s[6:7]
	global_store_byte v[15:16], v11, off
.LBB7_1703:
	s_mov_b64 s[6:7], -1
.LBB7_1704:
	s_mov_b64 s[10:11], 0
.LBB7_1705:
	s_and_b64 vcc, exec, s[10:11]
	s_cbranch_vccz .LBB7_1745
; %bb.1706:
	s_cmp_gt_i32 s15, 22
	s_mov_b64 s[4:5], -1
	s_cbranch_scc0 .LBB7_1738
; %bb.1707:
	s_cmp_lt_i32 s15, 24
	s_cbranch_scc1 .LBB7_1727
; %bb.1708:
	s_cmp_gt_i32 s15, 24
	s_cbranch_scc0 .LBB7_1716
; %bb.1709:
	v_cvt_f32_f64_e32 v8, v[6:7]
	s_mov_b32 s4, 0x47800000
	v_mov_b32_e32 v11, 0x80
	v_and_b32_e32 v9, 0x7fffffff, v8
	v_cmp_gt_u32_e32 vcc, s4, v9
	s_and_saveexec_b64 s[4:5], vcc
	s_cbranch_execz .LBB7_1715
; %bb.1710:
	s_mov_b32 s6, 0x37ffffff
	v_cmp_lt_u32_e32 vcc, s6, v9
	s_mov_b64 s[6:7], 0
                                        ; implicit-def: $vgpr9
	s_and_saveexec_b64 s[10:11], vcc
	s_xor_b64 s[10:11], exec, s[10:11]
	s_cbranch_execz .LBB7_2156
; %bb.1711:
	v_bfe_u32 v9, v8, 21, 1
	s_mov_b32 s12, 0x88fffff
	v_add3_u32 v9, v8, v9, s12
	s_mov_b64 s[6:7], exec
	v_lshrrev_b32_e32 v9, 21, v9
	s_andn2_saveexec_b64 s[10:11], s[10:11]
	s_cbranch_execnz .LBB7_2157
.LBB7_1712:
	s_or_b64 exec, exec, s[10:11]
	v_mov_b32_e32 v11, 0
	s_and_saveexec_b64 s[10:11], s[6:7]
.LBB7_1713:
	v_lshrrev_b32_e32 v8, 24, v8
	s_movk_i32 s6, 0x80
	v_and_or_b32 v11, v8, s6, v9
.LBB7_1714:
	s_or_b64 exec, exec, s[10:11]
.LBB7_1715:
	s_or_b64 exec, exec, s[4:5]
	s_mov_b64 s[4:5], 0
	global_store_byte v[15:16], v11, off
.LBB7_1716:
	s_and_b64 vcc, exec, s[4:5]
	s_cbranch_vccz .LBB7_1726
; %bb.1717:
	v_cvt_f32_f64_e32 v8, v[6:7]
	s_mov_b32 s4, 0x43f00000
                                        ; implicit-def: $vgpr9
	v_and_b32_e32 v11, 0x7fffffff, v8
	v_cmp_gt_u32_e32 vcc, s4, v11
	s_and_saveexec_b64 s[4:5], vcc
	s_xor_b64 s[4:5], exec, s[4:5]
	s_cbranch_execz .LBB7_1723
; %bb.1718:
	s_mov_b32 s6, 0x3c7fffff
	v_cmp_lt_u32_e32 vcc, s6, v11
                                        ; implicit-def: $vgpr9
	s_and_saveexec_b64 s[6:7], vcc
	s_xor_b64 s[6:7], exec, s[6:7]
; %bb.1719:
	v_bfe_u32 v9, v8, 20, 1
	s_mov_b32 s10, 0x407ffff
	v_add3_u32 v9, v8, v9, s10
	v_lshrrev_b32_e32 v11, 20, v9
	v_and_b32_e32 v9, 0xff00000, v9
	s_mov_b32 s10, 0x7f00000
	v_mov_b32_e32 v13, 0x7e
	v_cmp_ne_u32_e32 vcc, s10, v9
	v_cndmask_b32_e32 v9, v13, v11, vcc
; %bb.1720:
	s_andn2_saveexec_b64 s[6:7], s[6:7]
; %bb.1721:
	s_mov_b32 s10, 0x46800000
	v_add_f32_e64 v9, |v8|, s10
; %bb.1722:
	s_or_b64 exec, exec, s[6:7]
                                        ; implicit-def: $vgpr11
.LBB7_1723:
	s_andn2_saveexec_b64 s[4:5], s[4:5]
; %bb.1724:
	s_mov_b32 s6, 0x7f800000
	v_mov_b32_e32 v9, 0x7e
	v_mov_b32_e32 v13, 0x7f
	v_cmp_lt_u32_e32 vcc, s6, v11
	v_cndmask_b32_e32 v9, v9, v13, vcc
; %bb.1725:
	s_or_b64 exec, exec, s[4:5]
	v_lshrrev_b32_e32 v8, 24, v8
	s_movk_i32 s4, 0x80
	v_and_or_b32 v8, v8, s4, v9
	global_store_byte v[15:16], v8, off
.LBB7_1726:
	s_mov_b64 s[4:5], 0
.LBB7_1727:
	s_andn2_b64 vcc, exec, s[4:5]
	s_cbranch_vccnz .LBB7_1737
; %bb.1728:
	v_cvt_f32_f64_e32 v8, v[6:7]
	s_mov_b32 s4, 0x47800000
                                        ; implicit-def: $vgpr9
	v_and_b32_e32 v11, 0x7fffffff, v8
	v_cmp_gt_u32_e32 vcc, s4, v11
	s_and_saveexec_b64 s[4:5], vcc
	s_xor_b64 s[4:5], exec, s[4:5]
	s_cbranch_execz .LBB7_1734
; %bb.1729:
	s_mov_b32 s6, 0x387fffff
	v_cmp_lt_u32_e32 vcc, s6, v11
                                        ; implicit-def: $vgpr9
	s_and_saveexec_b64 s[6:7], vcc
	s_xor_b64 s[6:7], exec, s[6:7]
; %bb.1730:
	v_bfe_u32 v9, v8, 21, 1
	s_mov_b32 s10, 0x80fffff
	v_add3_u32 v9, v8, v9, s10
	v_lshrrev_b32_e32 v9, 21, v9
; %bb.1731:
	s_andn2_saveexec_b64 s[6:7], s[6:7]
; %bb.1732:
	s_mov_b32 s10, 0x43000000
	v_add_f32_e64 v9, |v8|, s10
; %bb.1733:
	s_or_b64 exec, exec, s[6:7]
                                        ; implicit-def: $vgpr11
.LBB7_1734:
	s_andn2_saveexec_b64 s[4:5], s[4:5]
; %bb.1735:
	s_mov_b32 s6, 0x7f800000
	v_mov_b32_e32 v9, 0x7c
	v_mov_b32_e32 v13, 0x7f
	v_cmp_lt_u32_e32 vcc, s6, v11
	v_cndmask_b32_e32 v9, v9, v13, vcc
; %bb.1736:
	s_or_b64 exec, exec, s[4:5]
	v_lshrrev_b32_e32 v8, 24, v8
	s_movk_i32 s4, 0x80
	v_and_or_b32 v8, v8, s4, v9
	global_store_byte v[15:16], v8, off
.LBB7_1737:
	s_mov_b64 s[4:5], 0
	s_mov_b64 s[6:7], -1
.LBB7_1738:
	s_andn2_b64 vcc, exec, s[4:5]
	s_mov_b64 s[4:5], 0
	s_cbranch_vccnz .LBB7_1745
; %bb.1739:
	s_cmp_gt_i32 s15, 14
	s_mov_b64 s[10:11], -1
	s_cbranch_scc0 .LBB7_1743
; %bb.1740:
	s_cmp_eq_u32 s15, 15
	s_mov_b64 s[0:1], -1
	s_cbranch_scc0 .LBB7_1742
; %bb.1741:
	v_cvt_f32_f64_e32 v8, v[6:7]
	s_movk_i32 s0, 0x7fff
	v_mov_b32_e32 v9, 0x7fc0
	s_mov_b64 s[6:7], -1
	v_bfe_u32 v11, v8, 16, 1
	v_cmp_o_f32_e32 vcc, v8, v8
	v_add3_u32 v8, v8, v11, s0
	v_cndmask_b32_sdwa v8, v9, v8, vcc dst_sel:DWORD dst_unused:UNUSED_PAD src0_sel:DWORD src1_sel:WORD_1
	global_store_short v[15:16], v8, off
	s_mov_b64 s[0:1], 0
.LBB7_1742:
	s_mov_b64 s[10:11], 0
.LBB7_1743:
	s_and_b64 vcc, exec, s[10:11]
	s_cbranch_vccz .LBB7_1745
; %bb.1744:
	s_cmp_lg_u32 s15, 11
	s_mov_b64 s[4:5], -1
	s_cselect_b64 s[0:1], -1, 0
.LBB7_1745:
	s_and_b64 vcc, exec, s[0:1]
	s_cbranch_vccnz .LBB7_2155
; %bb.1746:
	s_andn2_b64 vcc, exec, s[4:5]
	s_cbranch_vccnz .LBB7_1748
.LBB7_1747:
	v_cmp_neq_f64_e32 vcc, 0, v[6:7]
	s_mov_b64 s[6:7], -1
	v_cndmask_b32_e64 v8, 0, 1, vcc
	global_store_byte v[15:16], v8, off
.LBB7_1748:
	s_mov_b64 s[0:1], 0
	s_branch .LBB7_1796
.LBB7_1749:
	s_mov_b64 s[0:1], 0
                                        ; implicit-def: $vgpr4_vgpr5
                                        ; implicit-def: $sgpr14
                                        ; implicit-def: $vgpr0_vgpr1
.LBB7_1750:
	s_mov_b64 s[4:5], 0
.LBB7_1751:
	s_and_b64 s[6:7], s[4:5], exec
	s_andn2_b64 s[4:5], s[28:29], exec
	s_and_b64 s[2:3], s[2:3], exec
	s_and_b64 s[0:1], s[0:1], exec
	s_or_b64 s[28:29], s[4:5], s[2:3]
.LBB7_1752:
	s_or_b64 exec, exec, s[30:31]
	s_and_saveexec_b64 s[2:3], s[28:29]
	s_cbranch_execz .LBB7_1755
; %bb.1753:
	; divergent unreachable
	s_or_b64 exec, exec, s[2:3]
	s_and_saveexec_b64 s[2:3], s[6:7]
	s_xor_b64 s[2:3], exec, s[2:3]
	s_cbranch_execnz .LBB7_1756
.LBB7_1754:
	s_or_b64 exec, exec, s[2:3]
	s_and_saveexec_b64 s[2:3], s[0:1]
	s_cbranch_execnz .LBB7_1757
	s_branch .LBB7_1794
.LBB7_1755:
	s_or_b64 exec, exec, s[2:3]
	s_and_saveexec_b64 s[2:3], s[6:7]
	s_xor_b64 s[2:3], exec, s[2:3]
	s_cbranch_execz .LBB7_1754
.LBB7_1756:
	v_cmp_neq_f64_e32 vcc, 0, v[0:1]
	v_cndmask_b32_e64 v2, 0, 1, vcc
	s_waitcnt vmcnt(0)
	global_store_byte v[4:5], v2, off
	s_or_b64 exec, exec, s[2:3]
	s_and_saveexec_b64 s[2:3], s[0:1]
	s_cbranch_execz .LBB7_1794
.LBB7_1757:
	s_sext_i32_i16 s2, s14
	s_cmp_lt_i32 s2, 5
	s_mov_b64 s[0:1], -1
	s_cbranch_scc1 .LBB7_1778
; %bb.1758:
	s_cmp_lt_i32 s2, 8
	s_cbranch_scc1 .LBB7_1768
; %bb.1759:
	s_cmp_lt_i32 s2, 9
	s_cbranch_scc1 .LBB7_1765
; %bb.1760:
	s_cmp_gt_i32 s2, 9
	s_cbranch_scc0 .LBB7_1762
; %bb.1761:
	v_mov_b32_e32 v2, 0
	s_waitcnt vmcnt(0)
	v_mov_b32_e32 v3, v2
	global_store_dwordx4 v[4:5], v[0:3], off
	s_mov_b64 s[0:1], 0
.LBB7_1762:
	s_andn2_b64 vcc, exec, s[0:1]
	s_cbranch_vccnz .LBB7_1764
; %bb.1763:
	v_cvt_f32_f64_e32 v2, v[0:1]
	s_waitcnt vmcnt(0)
	v_mov_b32_e32 v3, 0
	global_store_dwordx2 v[4:5], v[2:3], off
.LBB7_1764:
	s_mov_b64 s[0:1], 0
.LBB7_1765:
	s_andn2_b64 vcc, exec, s[0:1]
	s_cbranch_vccnz .LBB7_1767
; %bb.1766:
	s_movk_i32 s0, 0x1ff
	v_and_or_b32 v2, v1, s0, v0
	v_cmp_ne_u32_e32 vcc, 0, v2
	v_cndmask_b32_e64 v2, 0, 1, vcc
	s_waitcnt vmcnt(0)
	v_lshrrev_b32_e32 v3, 8, v1
	s_movk_i32 s0, 0xffe
	v_bfe_u32 v6, v1, 20, 11
	v_and_or_b32 v2, v3, s0, v2
	v_sub_u32_e32 v7, 0x3f1, v6
	v_or_b32_e32 v3, 0x1000, v2
	v_med3_i32 v7, v7, 0, 13
	v_lshrrev_b32_e32 v8, v7, v3
	v_lshlrev_b32_e32 v7, v7, v8
	v_cmp_ne_u32_e32 vcc, v7, v3
	v_cndmask_b32_e64 v3, 0, 1, vcc
	v_add_u32_e32 v6, 0xfffffc10, v6
	v_or_b32_e32 v3, v8, v3
	v_lshl_or_b32 v7, v6, 12, v2
	v_cmp_gt_i32_e32 vcc, 1, v6
	v_cndmask_b32_e32 v3, v7, v3, vcc
	v_and_b32_e32 v7, 7, v3
	v_cmp_lt_i32_e32 vcc, 5, v7
	v_cndmask_b32_e64 v8, 0, 1, vcc
	v_cmp_eq_u32_e32 vcc, 3, v7
	v_cndmask_b32_e64 v7, 0, 1, vcc
	v_or_b32_e32 v7, v7, v8
	v_lshrrev_b32_e32 v3, 2, v3
	v_add_u32_e32 v3, v3, v7
	v_mov_b32_e32 v7, 0x7c00
	v_cmp_gt_i32_e32 vcc, 31, v6
	v_cndmask_b32_e32 v3, v7, v3, vcc
	v_mov_b32_e32 v8, 0x7e00
	v_cmp_ne_u32_e32 vcc, 0, v2
	s_movk_i32 s0, 0x40f
	v_cndmask_b32_e32 v2, v7, v8, vcc
	v_cmp_eq_u32_e32 vcc, s0, v6
	v_cndmask_b32_e32 v2, v3, v2, vcc
	v_lshrrev_b32_e32 v3, 16, v1
	s_mov_b32 s0, 0x8000
	v_and_or_b32 v2, v3, s0, v2
	v_and_b32_e32 v2, 0xffff, v2
	global_store_dword v[4:5], v2, off
.LBB7_1767:
	s_mov_b64 s[0:1], 0
.LBB7_1768:
	s_andn2_b64 vcc, exec, s[0:1]
	s_cbranch_vccnz .LBB7_1777
; %bb.1769:
	s_sext_i32_i16 s2, s14
	s_cmp_lt_i32 s2, 6
	s_mov_b64 s[0:1], -1
	s_cbranch_scc1 .LBB7_1775
; %bb.1770:
	s_cmp_gt_i32 s2, 6
	s_cbranch_scc0 .LBB7_1772
; %bb.1771:
	s_waitcnt vmcnt(0)
	global_store_dwordx2 v[4:5], v[0:1], off
	s_mov_b64 s[0:1], 0
.LBB7_1772:
	s_andn2_b64 vcc, exec, s[0:1]
	s_cbranch_vccnz .LBB7_1774
; %bb.1773:
	v_cvt_f32_f64_e32 v2, v[0:1]
	s_waitcnt vmcnt(0)
	global_store_dword v[4:5], v2, off
.LBB7_1774:
	s_mov_b64 s[0:1], 0
.LBB7_1775:
	s_andn2_b64 vcc, exec, s[0:1]
	s_cbranch_vccnz .LBB7_1777
; %bb.1776:
	s_movk_i32 s0, 0x1ff
	v_and_or_b32 v2, v1, s0, v0
	v_cmp_ne_u32_e32 vcc, 0, v2
	v_cndmask_b32_e64 v2, 0, 1, vcc
	s_waitcnt vmcnt(0)
	v_lshrrev_b32_e32 v3, 8, v1
	s_movk_i32 s0, 0xffe
	v_bfe_u32 v6, v1, 20, 11
	v_and_or_b32 v2, v3, s0, v2
	v_sub_u32_e32 v7, 0x3f1, v6
	v_or_b32_e32 v3, 0x1000, v2
	v_med3_i32 v7, v7, 0, 13
	v_lshrrev_b32_e32 v8, v7, v3
	v_lshlrev_b32_e32 v7, v7, v8
	v_cmp_ne_u32_e32 vcc, v7, v3
	v_cndmask_b32_e64 v3, 0, 1, vcc
	v_add_u32_e32 v6, 0xfffffc10, v6
	v_or_b32_e32 v3, v8, v3
	v_lshl_or_b32 v7, v6, 12, v2
	v_cmp_gt_i32_e32 vcc, 1, v6
	v_cndmask_b32_e32 v3, v7, v3, vcc
	v_and_b32_e32 v7, 7, v3
	v_cmp_lt_i32_e32 vcc, 5, v7
	v_cndmask_b32_e64 v8, 0, 1, vcc
	v_cmp_eq_u32_e32 vcc, 3, v7
	v_cndmask_b32_e64 v7, 0, 1, vcc
	v_or_b32_e32 v7, v7, v8
	v_lshrrev_b32_e32 v3, 2, v3
	v_add_u32_e32 v3, v3, v7
	v_mov_b32_e32 v7, 0x7c00
	v_cmp_gt_i32_e32 vcc, 31, v6
	v_cndmask_b32_e32 v3, v7, v3, vcc
	v_mov_b32_e32 v8, 0x7e00
	v_cmp_ne_u32_e32 vcc, 0, v2
	s_movk_i32 s0, 0x40f
	v_cndmask_b32_e32 v2, v7, v8, vcc
	v_cmp_eq_u32_e32 vcc, s0, v6
	v_cndmask_b32_e32 v2, v3, v2, vcc
	v_lshrrev_b32_e32 v3, 16, v1
	s_mov_b32 s0, 0x8000
	v_and_or_b32 v2, v3, s0, v2
	global_store_short v[4:5], v2, off
.LBB7_1777:
	s_mov_b64 s[0:1], 0
.LBB7_1778:
	s_andn2_b64 vcc, exec, s[0:1]
	s_cbranch_vccnz .LBB7_1794
; %bb.1779:
	s_sext_i32_i16 s2, s14
	s_cmp_lt_i32 s2, 2
	s_mov_b64 s[0:1], -1
	s_cbranch_scc1 .LBB7_1789
; %bb.1780:
	s_cmp_lt_i32 s2, 3
	s_cbranch_scc1 .LBB7_1786
; %bb.1781:
	s_cmp_gt_i32 s2, 3
	s_cbranch_scc0 .LBB7_1783
; %bb.1782:
	s_waitcnt vmcnt(0)
	v_trunc_f64_e32 v[2:3], v[0:1]
	s_movk_i32 s0, 0xffe0
	v_ldexp_f64 v[6:7], v[2:3], s0
	s_mov_b32 s0, 0
	s_mov_b32 s1, 0xc1f00000
	v_floor_f64_e32 v[6:7], v[6:7]
	v_fma_f64 v[2:3], v[6:7], s[0:1], v[2:3]
	v_cvt_i32_f64_e32 v7, v[6:7]
	s_mov_b64 s[0:1], 0
	v_cvt_u32_f64_e32 v6, v[2:3]
	global_store_dwordx2 v[4:5], v[6:7], off
.LBB7_1783:
	s_andn2_b64 vcc, exec, s[0:1]
	s_cbranch_vccnz .LBB7_1785
; %bb.1784:
	v_cvt_i32_f64_e32 v2, v[0:1]
	s_waitcnt vmcnt(0)
	global_store_dword v[4:5], v2, off
.LBB7_1785:
	s_mov_b64 s[0:1], 0
.LBB7_1786:
	s_andn2_b64 vcc, exec, s[0:1]
	s_cbranch_vccnz .LBB7_1788
; %bb.1787:
	v_cvt_i32_f64_e32 v2, v[0:1]
	s_waitcnt vmcnt(0)
	global_store_short v[4:5], v2, off
.LBB7_1788:
	s_mov_b64 s[0:1], 0
.LBB7_1789:
	s_andn2_b64 vcc, exec, s[0:1]
	s_cbranch_vccnz .LBB7_1794
; %bb.1790:
	s_sext_i32_i16 s0, s14
	s_cmp_gt_i32 s0, 0
	s_mov_b64 s[0:1], -1
	s_cbranch_scc0 .LBB7_1792
; %bb.1791:
	v_cvt_i32_f64_e32 v2, v[0:1]
	s_mov_b64 s[0:1], 0
	s_waitcnt vmcnt(0)
	global_store_byte v[4:5], v2, off
.LBB7_1792:
	s_andn2_b64 vcc, exec, s[0:1]
	s_cbranch_vccnz .LBB7_1794
; %bb.1793:
	v_trunc_f64_e32 v[0:1], v[0:1]
	s_movk_i32 s0, 0xffe0
	s_waitcnt vmcnt(0)
	v_ldexp_f64 v[2:3], v[0:1], s0
	s_mov_b32 s0, 0
	s_mov_b32 s1, 0xc1f00000
	v_floor_f64_e32 v[2:3], v[2:3]
	v_fma_f64 v[0:1], v[2:3], s[0:1], v[0:1]
	v_cvt_u32_f64_e32 v0, v[0:1]
	global_store_byte v[4:5], v0, off
	s_endpgm
.LBB7_1794:
	s_endpgm
.LBB7_1795:
	s_mov_b64 s[0:1], -1
	s_mov_b64 s[6:7], 0
.LBB7_1796:
	s_and_b64 vcc, exec, s[0:1]
	s_cbranch_vccz .LBB7_1835
; %bb.1797:
	s_and_b32 s4, 0xffff, s14
	s_cmp_lt_i32 s4, 5
	s_mov_b64 s[0:1], -1
	s_cbranch_scc1 .LBB7_1818
; %bb.1798:
	s_cmp_lt_i32 s4, 8
	s_cbranch_scc1 .LBB7_1808
; %bb.1799:
	s_cmp_lt_i32 s4, 9
	s_cbranch_scc1 .LBB7_1805
; %bb.1800:
	s_cmp_gt_i32 s4, 9
	s_cbranch_scc0 .LBB7_1802
; %bb.1801:
	v_mov_b32_e32 v8, 0
	v_mov_b32_e32 v9, v8
	global_store_dwordx4 v[15:16], v[6:9], off
	s_mov_b64 s[0:1], 0
.LBB7_1802:
	s_andn2_b64 vcc, exec, s[0:1]
	s_cbranch_vccnz .LBB7_1804
; %bb.1803:
	v_cvt_f32_f64_e32 v8, v[6:7]
	v_mov_b32_e32 v9, 0
	global_store_dwordx2 v[15:16], v[8:9], off
.LBB7_1804:
	s_mov_b64 s[0:1], 0
.LBB7_1805:
	s_andn2_b64 vcc, exec, s[0:1]
	s_cbranch_vccnz .LBB7_1807
; %bb.1806:
	s_movk_i32 s0, 0x1ff
	v_and_or_b32 v8, v7, s0, v6
	v_cmp_ne_u32_e32 vcc, 0, v8
	v_cndmask_b32_e64 v8, 0, 1, vcc
	v_lshrrev_b32_e32 v9, 8, v7
	s_movk_i32 s0, 0xffe
	v_bfe_u32 v11, v7, 20, 11
	v_and_or_b32 v8, v9, s0, v8
	v_sub_u32_e32 v13, 0x3f1, v11
	v_or_b32_e32 v9, 0x1000, v8
	v_med3_i32 v13, v13, 0, 13
	v_lshrrev_b32_e32 v17, v13, v9
	v_lshlrev_b32_e32 v13, v13, v17
	v_cmp_ne_u32_e32 vcc, v13, v9
	v_cndmask_b32_e64 v9, 0, 1, vcc
	v_add_u32_e32 v11, 0xfffffc10, v11
	v_or_b32_e32 v9, v17, v9
	v_lshl_or_b32 v13, v11, 12, v8
	v_cmp_gt_i32_e32 vcc, 1, v11
	v_cndmask_b32_e32 v9, v13, v9, vcc
	v_and_b32_e32 v13, 7, v9
	v_cmp_lt_i32_e32 vcc, 5, v13
	v_cndmask_b32_e64 v17, 0, 1, vcc
	v_cmp_eq_u32_e32 vcc, 3, v13
	v_cndmask_b32_e64 v13, 0, 1, vcc
	v_or_b32_e32 v13, v13, v17
	v_lshrrev_b32_e32 v9, 2, v9
	v_add_u32_e32 v9, v9, v13
	v_mov_b32_e32 v13, 0x7c00
	v_cmp_gt_i32_e32 vcc, 31, v11
	v_cndmask_b32_e32 v9, v13, v9, vcc
	v_mov_b32_e32 v17, 0x7e00
	v_cmp_ne_u32_e32 vcc, 0, v8
	s_movk_i32 s0, 0x40f
	v_cndmask_b32_e32 v8, v13, v17, vcc
	v_cmp_eq_u32_e32 vcc, s0, v11
	v_cndmask_b32_e32 v8, v9, v8, vcc
	v_lshrrev_b32_e32 v9, 16, v7
	s_mov_b32 s0, 0x8000
	v_and_or_b32 v8, v9, s0, v8
	v_and_b32_e32 v8, 0xffff, v8
	global_store_dword v[15:16], v8, off
.LBB7_1807:
	s_mov_b64 s[0:1], 0
.LBB7_1808:
	s_andn2_b64 vcc, exec, s[0:1]
	s_cbranch_vccnz .LBB7_1817
; %bb.1809:
	s_cmp_lt_i32 s4, 6
	s_mov_b64 s[0:1], -1
	s_cbranch_scc1 .LBB7_1815
; %bb.1810:
	s_cmp_gt_i32 s4, 6
	s_cbranch_scc0 .LBB7_1812
; %bb.1811:
	global_store_dwordx2 v[15:16], v[6:7], off
	s_mov_b64 s[0:1], 0
.LBB7_1812:
	s_andn2_b64 vcc, exec, s[0:1]
	s_cbranch_vccnz .LBB7_1814
; %bb.1813:
	v_cvt_f32_f64_e32 v8, v[6:7]
	global_store_dword v[15:16], v8, off
.LBB7_1814:
	s_mov_b64 s[0:1], 0
.LBB7_1815:
	s_andn2_b64 vcc, exec, s[0:1]
	s_cbranch_vccnz .LBB7_1817
; %bb.1816:
	s_movk_i32 s0, 0x1ff
	v_and_or_b32 v8, v7, s0, v6
	v_cmp_ne_u32_e32 vcc, 0, v8
	v_cndmask_b32_e64 v8, 0, 1, vcc
	v_lshrrev_b32_e32 v9, 8, v7
	s_movk_i32 s0, 0xffe
	v_bfe_u32 v11, v7, 20, 11
	v_and_or_b32 v8, v9, s0, v8
	v_sub_u32_e32 v13, 0x3f1, v11
	v_or_b32_e32 v9, 0x1000, v8
	v_med3_i32 v13, v13, 0, 13
	v_lshrrev_b32_e32 v17, v13, v9
	v_lshlrev_b32_e32 v13, v13, v17
	v_cmp_ne_u32_e32 vcc, v13, v9
	v_cndmask_b32_e64 v9, 0, 1, vcc
	v_add_u32_e32 v11, 0xfffffc10, v11
	v_or_b32_e32 v9, v17, v9
	v_lshl_or_b32 v13, v11, 12, v8
	v_cmp_gt_i32_e32 vcc, 1, v11
	v_cndmask_b32_e32 v9, v13, v9, vcc
	v_and_b32_e32 v13, 7, v9
	v_cmp_lt_i32_e32 vcc, 5, v13
	v_cndmask_b32_e64 v17, 0, 1, vcc
	v_cmp_eq_u32_e32 vcc, 3, v13
	v_cndmask_b32_e64 v13, 0, 1, vcc
	v_or_b32_e32 v13, v13, v17
	v_lshrrev_b32_e32 v9, 2, v9
	v_add_u32_e32 v9, v9, v13
	v_mov_b32_e32 v13, 0x7c00
	v_cmp_gt_i32_e32 vcc, 31, v11
	v_cndmask_b32_e32 v9, v13, v9, vcc
	v_mov_b32_e32 v17, 0x7e00
	v_cmp_ne_u32_e32 vcc, 0, v8
	s_movk_i32 s0, 0x40f
	v_cndmask_b32_e32 v8, v13, v17, vcc
	v_cmp_eq_u32_e32 vcc, s0, v11
	v_cndmask_b32_e32 v8, v9, v8, vcc
	v_lshrrev_b32_e32 v9, 16, v7
	s_mov_b32 s0, 0x8000
	v_and_or_b32 v8, v9, s0, v8
	global_store_short v[15:16], v8, off
.LBB7_1817:
	s_mov_b64 s[0:1], 0
.LBB7_1818:
	s_andn2_b64 vcc, exec, s[0:1]
	s_cbranch_vccnz .LBB7_1834
; %bb.1819:
	s_cmp_lt_i32 s4, 2
	s_mov_b64 s[0:1], -1
	s_cbranch_scc1 .LBB7_1829
; %bb.1820:
	s_cmp_lt_i32 s4, 3
	s_cbranch_scc1 .LBB7_1826
; %bb.1821:
	s_cmp_gt_i32 s4, 3
	s_cbranch_scc0 .LBB7_1823
; %bb.1822:
	v_trunc_f64_e32 v[8:9], v[6:7]
	s_movk_i32 s0, 0xffe0
	v_ldexp_f64 v[17:18], v[8:9], s0
	s_mov_b32 s0, 0
	s_mov_b32 s1, 0xc1f00000
	v_floor_f64_e32 v[17:18], v[17:18]
	v_fma_f64 v[8:9], v[17:18], s[0:1], v[8:9]
	v_cvt_i32_f64_e32 v18, v[17:18]
	s_mov_b64 s[0:1], 0
	v_cvt_u32_f64_e32 v17, v[8:9]
	global_store_dwordx2 v[15:16], v[17:18], off
.LBB7_1823:
	s_andn2_b64 vcc, exec, s[0:1]
	s_cbranch_vccnz .LBB7_1825
; %bb.1824:
	v_cvt_i32_f64_e32 v8, v[6:7]
	global_store_dword v[15:16], v8, off
.LBB7_1825:
	s_mov_b64 s[0:1], 0
.LBB7_1826:
	s_andn2_b64 vcc, exec, s[0:1]
	s_cbranch_vccnz .LBB7_1828
; %bb.1827:
	v_cvt_i32_f64_e32 v8, v[6:7]
	global_store_short v[15:16], v8, off
.LBB7_1828:
	s_mov_b64 s[0:1], 0
.LBB7_1829:
	s_andn2_b64 vcc, exec, s[0:1]
	s_cbranch_vccnz .LBB7_1834
; %bb.1830:
	s_cmp_gt_i32 s4, 0
	s_mov_b64 s[0:1], -1
	s_cbranch_scc0 .LBB7_1832
; %bb.1831:
	v_cvt_i32_f64_e32 v8, v[6:7]
	s_mov_b64 s[0:1], 0
	global_store_byte v[15:16], v8, off
.LBB7_1832:
	s_andn2_b64 vcc, exec, s[0:1]
	s_cbranch_vccnz .LBB7_1834
; %bb.1833:
	v_trunc_f64_e32 v[6:7], v[6:7]
	s_movk_i32 s0, 0xffe0
	v_ldexp_f64 v[8:9], v[6:7], s0
	s_mov_b32 s0, 0
	s_mov_b32 s1, 0xc1f00000
	v_floor_f64_e32 v[8:9], v[8:9]
	v_fma_f64 v[6:7], v[8:9], s[0:1], v[6:7]
	v_cvt_u32_f64_e32 v6, v[6:7]
	global_store_byte v[15:16], v6, off
.LBB7_1834:
	s_mov_b64 s[6:7], -1
.LBB7_1835:
	s_andn2_b64 vcc, exec, s[6:7]
	s_cbranch_vccnz .LBB7_2150
; %bb.1836:
	v_mov_b32_e32 v6, s9
	s_and_b32 s15, 0xffff, s14
	v_add_co_u32_e32 v8, vcc, s8, v14
	s_cmp_lt_i32 s15, 11
	v_addc_co_u32_e32 v9, vcc, 0, v6, vcc
	s_cbranch_scc1 .LBB7_1914
; %bb.1837:
	s_mov_b64 s[10:11], -1
	s_mov_b64 s[4:5], 0
	s_cmp_gt_i32 s15, 25
	s_mov_b64 s[6:7], 0
	s_mov_b64 s[0:1], 0
	s_cbranch_scc0 .LBB7_1870
; %bb.1838:
	s_cmp_gt_i32 s15, 28
	s_cbranch_scc0 .LBB7_1853
; %bb.1839:
	s_cmp_gt_i32 s15, 43
	;; [unrolled: 3-line block ×3, first 2 shown]
	s_cbranch_scc0 .LBB7_1843
; %bb.1841:
	s_mov_b64 s[0:1], -1
	s_mov_b64 s[10:11], 0
	s_cmp_eq_u32 s15, 46
	s_cbranch_scc0 .LBB7_1843
; %bb.1842:
	v_cvt_f32_f64_e32 v6, v[4:5]
	s_movk_i32 s0, 0x7fff
	v_mov_b32_e32 v7, 0x7fc0
	s_mov_b64 s[6:7], -1
	v_bfe_u32 v11, v6, 16, 1
	v_cmp_o_f32_e32 vcc, v6, v6
	v_add3_u32 v6, v6, v11, s0
	v_cndmask_b32_sdwa v6, v7, v6, vcc dst_sel:DWORD dst_unused:UNUSED_PAD src0_sel:DWORD src1_sel:WORD_1
	global_store_dword v[8:9], v6, off
	s_mov_b64 s[0:1], 0
.LBB7_1843:
	s_and_b64 vcc, exec, s[10:11]
	s_cbranch_vccz .LBB7_1848
; %bb.1844:
	s_cmp_eq_u32 s15, 44
	s_mov_b64 s[0:1], -1
	s_cbranch_scc0 .LBB7_1848
; %bb.1845:
	v_cvt_f32_f64_e32 v6, v[4:5]
	s_movk_i32 s0, 0xff
	v_mov_b32_e32 v11, 0xff
	v_bfe_u32 v7, v6, 23, 8
	v_cmp_ne_u32_e32 vcc, s0, v7
	s_and_saveexec_b64 s[6:7], vcc
; %bb.1846:
	s_mov_b32 s0, 0x3fffff
	v_lshrrev_b32_e32 v11, 23, v6
	v_and_b32_e32 v13, 0x400000, v6
	v_and_or_b32 v6, v6, s0, v7
	v_cmp_ne_u32_e32 vcc, 0, v13
	v_cmp_ne_u32_e64 s[0:1], 0, v6
	s_and_b64 s[0:1], vcc, s[0:1]
	v_cndmask_b32_e64 v6, 0, 1, s[0:1]
	v_add_u32_e32 v11, v11, v6
; %bb.1847:
	s_or_b64 exec, exec, s[6:7]
	s_mov_b64 s[0:1], 0
	s_mov_b64 s[6:7], -1
	global_store_byte v[8:9], v11, off
.LBB7_1848:
	s_mov_b64 s[10:11], 0
.LBB7_1849:
	s_and_b64 vcc, exec, s[10:11]
	s_cbranch_vccz .LBB7_1852
; %bb.1850:
	s_cmp_eq_u32 s15, 29
	s_mov_b64 s[0:1], -1
	s_cbranch_scc0 .LBB7_1852
; %bb.1851:
	v_trunc_f64_e32 v[6:7], v[4:5]
	s_movk_i32 s0, 0xffe0
	s_mov_b64 s[6:7], -1
	v_ldexp_f64 v[13:14], v[6:7], s0
	s_mov_b32 s0, 0
	s_mov_b32 s1, 0xc1f00000
	v_floor_f64_e32 v[13:14], v[13:14]
	v_fma_f64 v[6:7], v[13:14], s[0:1], v[6:7]
	v_cvt_u32_f64_e32 v14, v[13:14]
	s_mov_b64 s[0:1], 0
	v_cvt_u32_f64_e32 v13, v[6:7]
	global_store_dwordx2 v[8:9], v[13:14], off
.LBB7_1852:
	s_mov_b64 s[10:11], 0
.LBB7_1853:
	s_and_b64 vcc, exec, s[10:11]
	s_cbranch_vccz .LBB7_1869
; %bb.1854:
	s_cmp_lt_i32 s15, 27
	s_mov_b64 s[6:7], -1
	s_cbranch_scc1 .LBB7_1860
; %bb.1855:
	s_cmp_gt_i32 s15, 27
	s_cbranch_scc0 .LBB7_1857
; %bb.1856:
	v_cvt_u32_f64_e32 v6, v[4:5]
	s_mov_b64 s[6:7], 0
	global_store_dword v[8:9], v6, off
.LBB7_1857:
	s_andn2_b64 vcc, exec, s[6:7]
	s_cbranch_vccnz .LBB7_1859
; %bb.1858:
	v_cvt_u32_f64_e32 v6, v[4:5]
	global_store_short v[8:9], v6, off
.LBB7_1859:
	s_mov_b64 s[6:7], 0
.LBB7_1860:
	s_andn2_b64 vcc, exec, s[6:7]
	s_cbranch_vccnz .LBB7_1868
; %bb.1861:
	v_cvt_f32_f64_e32 v6, v[4:5]
	s_mov_b32 s6, 0x43800000
	v_mov_b32_e32 v11, 0x80
	v_and_b32_e32 v7, 0x7fffffff, v6
	v_cmp_gt_u32_e32 vcc, s6, v7
	s_and_saveexec_b64 s[6:7], vcc
	s_cbranch_execz .LBB7_1867
; %bb.1862:
	s_mov_b32 s10, 0x3bffffff
	v_cmp_lt_u32_e32 vcc, s10, v7
	s_mov_b64 s[10:11], 0
                                        ; implicit-def: $vgpr7
	s_and_saveexec_b64 s[12:13], vcc
	s_xor_b64 s[12:13], exec, s[12:13]
	s_cbranch_execz .LBB7_2158
; %bb.1863:
	v_bfe_u32 v7, v6, 20, 1
	s_mov_b32 s16, 0x487ffff
	v_add3_u32 v7, v6, v7, s16
	s_mov_b64 s[10:11], exec
	v_lshrrev_b32_e32 v7, 20, v7
	s_andn2_saveexec_b64 s[12:13], s[12:13]
	s_cbranch_execnz .LBB7_2159
.LBB7_1864:
	s_or_b64 exec, exec, s[12:13]
	v_mov_b32_e32 v11, 0
	s_and_saveexec_b64 s[12:13], s[10:11]
.LBB7_1865:
	v_lshrrev_b32_e32 v6, 24, v6
	s_movk_i32 s10, 0x80
	v_and_or_b32 v11, v6, s10, v7
.LBB7_1866:
	s_or_b64 exec, exec, s[12:13]
.LBB7_1867:
	s_or_b64 exec, exec, s[6:7]
	global_store_byte v[8:9], v11, off
.LBB7_1868:
	s_mov_b64 s[6:7], -1
.LBB7_1869:
	s_mov_b64 s[10:11], 0
.LBB7_1870:
	s_and_b64 vcc, exec, s[10:11]
	s_cbranch_vccz .LBB7_1910
; %bb.1871:
	s_cmp_gt_i32 s15, 22
	s_mov_b64 s[4:5], -1
	s_cbranch_scc0 .LBB7_1903
; %bb.1872:
	s_cmp_lt_i32 s15, 24
	s_cbranch_scc1 .LBB7_1892
; %bb.1873:
	s_cmp_gt_i32 s15, 24
	s_cbranch_scc0 .LBB7_1881
; %bb.1874:
	v_cvt_f32_f64_e32 v6, v[4:5]
	s_mov_b32 s4, 0x47800000
	v_mov_b32_e32 v11, 0x80
	v_and_b32_e32 v7, 0x7fffffff, v6
	v_cmp_gt_u32_e32 vcc, s4, v7
	s_and_saveexec_b64 s[4:5], vcc
	s_cbranch_execz .LBB7_1880
; %bb.1875:
	s_mov_b32 s6, 0x37ffffff
	v_cmp_lt_u32_e32 vcc, s6, v7
	s_mov_b64 s[6:7], 0
                                        ; implicit-def: $vgpr7
	s_and_saveexec_b64 s[10:11], vcc
	s_xor_b64 s[10:11], exec, s[10:11]
	s_cbranch_execz .LBB7_2161
; %bb.1876:
	v_bfe_u32 v7, v6, 21, 1
	s_mov_b32 s12, 0x88fffff
	v_add3_u32 v7, v6, v7, s12
	s_mov_b64 s[6:7], exec
	v_lshrrev_b32_e32 v7, 21, v7
	s_andn2_saveexec_b64 s[10:11], s[10:11]
	s_cbranch_execnz .LBB7_2162
.LBB7_1877:
	s_or_b64 exec, exec, s[10:11]
	v_mov_b32_e32 v11, 0
	s_and_saveexec_b64 s[10:11], s[6:7]
.LBB7_1878:
	v_lshrrev_b32_e32 v6, 24, v6
	s_movk_i32 s6, 0x80
	v_and_or_b32 v11, v6, s6, v7
.LBB7_1879:
	s_or_b64 exec, exec, s[10:11]
.LBB7_1880:
	s_or_b64 exec, exec, s[4:5]
	s_mov_b64 s[4:5], 0
	global_store_byte v[8:9], v11, off
.LBB7_1881:
	s_and_b64 vcc, exec, s[4:5]
	s_cbranch_vccz .LBB7_1891
; %bb.1882:
	v_cvt_f32_f64_e32 v6, v[4:5]
	s_mov_b32 s4, 0x43f00000
                                        ; implicit-def: $vgpr7
	v_and_b32_e32 v11, 0x7fffffff, v6
	v_cmp_gt_u32_e32 vcc, s4, v11
	s_and_saveexec_b64 s[4:5], vcc
	s_xor_b64 s[4:5], exec, s[4:5]
	s_cbranch_execz .LBB7_1888
; %bb.1883:
	s_mov_b32 s6, 0x3c7fffff
	v_cmp_lt_u32_e32 vcc, s6, v11
                                        ; implicit-def: $vgpr7
	s_and_saveexec_b64 s[6:7], vcc
	s_xor_b64 s[6:7], exec, s[6:7]
; %bb.1884:
	v_bfe_u32 v7, v6, 20, 1
	s_mov_b32 s10, 0x407ffff
	v_add3_u32 v7, v6, v7, s10
	v_lshrrev_b32_e32 v11, 20, v7
	v_and_b32_e32 v7, 0xff00000, v7
	s_mov_b32 s10, 0x7f00000
	v_mov_b32_e32 v13, 0x7e
	v_cmp_ne_u32_e32 vcc, s10, v7
	v_cndmask_b32_e32 v7, v13, v11, vcc
; %bb.1885:
	s_andn2_saveexec_b64 s[6:7], s[6:7]
; %bb.1886:
	s_mov_b32 s10, 0x46800000
	v_add_f32_e64 v7, |v6|, s10
; %bb.1887:
	s_or_b64 exec, exec, s[6:7]
                                        ; implicit-def: $vgpr11
.LBB7_1888:
	s_andn2_saveexec_b64 s[4:5], s[4:5]
; %bb.1889:
	s_mov_b32 s6, 0x7f800000
	v_mov_b32_e32 v7, 0x7e
	v_mov_b32_e32 v13, 0x7f
	v_cmp_lt_u32_e32 vcc, s6, v11
	v_cndmask_b32_e32 v7, v7, v13, vcc
; %bb.1890:
	s_or_b64 exec, exec, s[4:5]
	v_lshrrev_b32_e32 v6, 24, v6
	s_movk_i32 s4, 0x80
	v_and_or_b32 v6, v6, s4, v7
	global_store_byte v[8:9], v6, off
.LBB7_1891:
	s_mov_b64 s[4:5], 0
.LBB7_1892:
	s_andn2_b64 vcc, exec, s[4:5]
	s_cbranch_vccnz .LBB7_1902
; %bb.1893:
	v_cvt_f32_f64_e32 v6, v[4:5]
	s_mov_b32 s4, 0x47800000
                                        ; implicit-def: $vgpr7
	v_and_b32_e32 v11, 0x7fffffff, v6
	v_cmp_gt_u32_e32 vcc, s4, v11
	s_and_saveexec_b64 s[4:5], vcc
	s_xor_b64 s[4:5], exec, s[4:5]
	s_cbranch_execz .LBB7_1899
; %bb.1894:
	s_mov_b32 s6, 0x387fffff
	v_cmp_lt_u32_e32 vcc, s6, v11
                                        ; implicit-def: $vgpr7
	s_and_saveexec_b64 s[6:7], vcc
	s_xor_b64 s[6:7], exec, s[6:7]
; %bb.1895:
	v_bfe_u32 v7, v6, 21, 1
	s_mov_b32 s10, 0x80fffff
	v_add3_u32 v7, v6, v7, s10
	v_lshrrev_b32_e32 v7, 21, v7
; %bb.1896:
	s_andn2_saveexec_b64 s[6:7], s[6:7]
; %bb.1897:
	s_mov_b32 s10, 0x43000000
	v_add_f32_e64 v7, |v6|, s10
; %bb.1898:
	s_or_b64 exec, exec, s[6:7]
                                        ; implicit-def: $vgpr11
.LBB7_1899:
	s_andn2_saveexec_b64 s[4:5], s[4:5]
; %bb.1900:
	s_mov_b32 s6, 0x7f800000
	v_mov_b32_e32 v7, 0x7c
	v_mov_b32_e32 v13, 0x7f
	v_cmp_lt_u32_e32 vcc, s6, v11
	v_cndmask_b32_e32 v7, v7, v13, vcc
; %bb.1901:
	s_or_b64 exec, exec, s[4:5]
	v_lshrrev_b32_e32 v6, 24, v6
	s_movk_i32 s4, 0x80
	v_and_or_b32 v6, v6, s4, v7
	global_store_byte v[8:9], v6, off
.LBB7_1902:
	s_mov_b64 s[4:5], 0
	s_mov_b64 s[6:7], -1
.LBB7_1903:
	s_andn2_b64 vcc, exec, s[4:5]
	s_mov_b64 s[4:5], 0
	s_cbranch_vccnz .LBB7_1910
; %bb.1904:
	s_cmp_gt_i32 s15, 14
	s_mov_b64 s[10:11], -1
	s_cbranch_scc0 .LBB7_1908
; %bb.1905:
	s_cmp_eq_u32 s15, 15
	s_mov_b64 s[0:1], -1
	s_cbranch_scc0 .LBB7_1907
; %bb.1906:
	v_cvt_f32_f64_e32 v6, v[4:5]
	s_movk_i32 s0, 0x7fff
	v_mov_b32_e32 v7, 0x7fc0
	s_mov_b64 s[6:7], -1
	v_bfe_u32 v11, v6, 16, 1
	v_cmp_o_f32_e32 vcc, v6, v6
	v_add3_u32 v6, v6, v11, s0
	v_cndmask_b32_sdwa v6, v7, v6, vcc dst_sel:DWORD dst_unused:UNUSED_PAD src0_sel:DWORD src1_sel:WORD_1
	global_store_short v[8:9], v6, off
	s_mov_b64 s[0:1], 0
.LBB7_1907:
	s_mov_b64 s[10:11], 0
.LBB7_1908:
	s_and_b64 vcc, exec, s[10:11]
	s_cbranch_vccz .LBB7_1910
; %bb.1909:
	s_cmp_lg_u32 s15, 11
	s_mov_b64 s[4:5], -1
	s_cselect_b64 s[0:1], -1, 0
.LBB7_1910:
	s_and_b64 vcc, exec, s[0:1]
	s_cbranch_vccnz .LBB7_2160
; %bb.1911:
	s_andn2_b64 vcc, exec, s[4:5]
	s_cbranch_vccnz .LBB7_1913
.LBB7_1912:
	v_cmp_neq_f64_e32 vcc, 0, v[4:5]
	s_mov_b64 s[6:7], -1
	v_cndmask_b32_e64 v6, 0, 1, vcc
	global_store_byte v[8:9], v6, off
.LBB7_1913:
	s_mov_b64 s[0:1], 0
	s_branch .LBB7_1915
.LBB7_1914:
	s_mov_b64 s[0:1], -1
	s_mov_b64 s[6:7], 0
.LBB7_1915:
	s_and_b64 vcc, exec, s[0:1]
	s_cbranch_vccz .LBB7_1954
; %bb.1916:
	s_cmp_lt_i32 s15, 5
	s_mov_b64 s[0:1], -1
	s_cbranch_scc1 .LBB7_1937
; %bb.1917:
	s_cmp_lt_i32 s15, 8
	s_cbranch_scc1 .LBB7_1927
; %bb.1918:
	s_cmp_lt_i32 s15, 9
	s_cbranch_scc1 .LBB7_1924
; %bb.1919:
	s_cmp_gt_i32 s15, 9
	s_cbranch_scc0 .LBB7_1921
; %bb.1920:
	v_mov_b32_e32 v6, 0
	v_mov_b32_e32 v7, v6
	global_store_dwordx4 v[8:9], v[4:7], off
	s_mov_b64 s[0:1], 0
.LBB7_1921:
	s_andn2_b64 vcc, exec, s[0:1]
	s_cbranch_vccnz .LBB7_1923
; %bb.1922:
	v_cvt_f32_f64_e32 v6, v[4:5]
	v_mov_b32_e32 v7, 0
	global_store_dwordx2 v[8:9], v[6:7], off
.LBB7_1923:
	s_mov_b64 s[0:1], 0
.LBB7_1924:
	s_andn2_b64 vcc, exec, s[0:1]
	s_cbranch_vccnz .LBB7_1926
; %bb.1925:
	s_movk_i32 s0, 0x1ff
	v_and_or_b32 v6, v5, s0, v4
	v_cmp_ne_u32_e32 vcc, 0, v6
	v_cndmask_b32_e64 v6, 0, 1, vcc
	v_lshrrev_b32_e32 v7, 8, v5
	s_movk_i32 s0, 0xffe
	v_bfe_u32 v11, v5, 20, 11
	v_and_or_b32 v6, v7, s0, v6
	v_sub_u32_e32 v13, 0x3f1, v11
	v_or_b32_e32 v7, 0x1000, v6
	v_med3_i32 v13, v13, 0, 13
	v_lshrrev_b32_e32 v14, v13, v7
	v_lshlrev_b32_e32 v13, v13, v14
	v_cmp_ne_u32_e32 vcc, v13, v7
	v_cndmask_b32_e64 v7, 0, 1, vcc
	v_add_u32_e32 v11, 0xfffffc10, v11
	v_or_b32_e32 v7, v14, v7
	v_lshl_or_b32 v13, v11, 12, v6
	v_cmp_gt_i32_e32 vcc, 1, v11
	v_cndmask_b32_e32 v7, v13, v7, vcc
	v_and_b32_e32 v13, 7, v7
	v_cmp_lt_i32_e32 vcc, 5, v13
	v_cndmask_b32_e64 v14, 0, 1, vcc
	v_cmp_eq_u32_e32 vcc, 3, v13
	v_cndmask_b32_e64 v13, 0, 1, vcc
	v_or_b32_e32 v13, v13, v14
	v_lshrrev_b32_e32 v7, 2, v7
	v_add_u32_e32 v7, v7, v13
	v_mov_b32_e32 v13, 0x7c00
	v_cmp_gt_i32_e32 vcc, 31, v11
	v_cndmask_b32_e32 v7, v13, v7, vcc
	v_mov_b32_e32 v14, 0x7e00
	v_cmp_ne_u32_e32 vcc, 0, v6
	s_movk_i32 s0, 0x40f
	v_cndmask_b32_e32 v6, v13, v14, vcc
	v_cmp_eq_u32_e32 vcc, s0, v11
	v_cndmask_b32_e32 v6, v7, v6, vcc
	v_lshrrev_b32_e32 v7, 16, v5
	s_mov_b32 s0, 0x8000
	v_and_or_b32 v6, v7, s0, v6
	v_and_b32_e32 v6, 0xffff, v6
	global_store_dword v[8:9], v6, off
.LBB7_1926:
	s_mov_b64 s[0:1], 0
.LBB7_1927:
	s_andn2_b64 vcc, exec, s[0:1]
	s_cbranch_vccnz .LBB7_1936
; %bb.1928:
	s_cmp_lt_i32 s15, 6
	s_mov_b64 s[0:1], -1
	s_cbranch_scc1 .LBB7_1934
; %bb.1929:
	s_cmp_gt_i32 s15, 6
	s_cbranch_scc0 .LBB7_1931
; %bb.1930:
	global_store_dwordx2 v[8:9], v[4:5], off
	s_mov_b64 s[0:1], 0
.LBB7_1931:
	s_andn2_b64 vcc, exec, s[0:1]
	s_cbranch_vccnz .LBB7_1933
; %bb.1932:
	v_cvt_f32_f64_e32 v6, v[4:5]
	global_store_dword v[8:9], v6, off
.LBB7_1933:
	s_mov_b64 s[0:1], 0
.LBB7_1934:
	s_andn2_b64 vcc, exec, s[0:1]
	s_cbranch_vccnz .LBB7_1936
; %bb.1935:
	s_movk_i32 s0, 0x1ff
	v_and_or_b32 v6, v5, s0, v4
	v_cmp_ne_u32_e32 vcc, 0, v6
	v_cndmask_b32_e64 v6, 0, 1, vcc
	v_lshrrev_b32_e32 v7, 8, v5
	s_movk_i32 s0, 0xffe
	v_bfe_u32 v11, v5, 20, 11
	v_and_or_b32 v6, v7, s0, v6
	v_sub_u32_e32 v13, 0x3f1, v11
	v_or_b32_e32 v7, 0x1000, v6
	v_med3_i32 v13, v13, 0, 13
	v_lshrrev_b32_e32 v14, v13, v7
	v_lshlrev_b32_e32 v13, v13, v14
	v_cmp_ne_u32_e32 vcc, v13, v7
	v_cndmask_b32_e64 v7, 0, 1, vcc
	v_add_u32_e32 v11, 0xfffffc10, v11
	v_or_b32_e32 v7, v14, v7
	v_lshl_or_b32 v13, v11, 12, v6
	v_cmp_gt_i32_e32 vcc, 1, v11
	v_cndmask_b32_e32 v7, v13, v7, vcc
	v_and_b32_e32 v13, 7, v7
	v_cmp_lt_i32_e32 vcc, 5, v13
	v_cndmask_b32_e64 v14, 0, 1, vcc
	v_cmp_eq_u32_e32 vcc, 3, v13
	v_cndmask_b32_e64 v13, 0, 1, vcc
	v_or_b32_e32 v13, v13, v14
	v_lshrrev_b32_e32 v7, 2, v7
	v_add_u32_e32 v7, v7, v13
	v_mov_b32_e32 v13, 0x7c00
	v_cmp_gt_i32_e32 vcc, 31, v11
	v_cndmask_b32_e32 v7, v13, v7, vcc
	v_mov_b32_e32 v14, 0x7e00
	v_cmp_ne_u32_e32 vcc, 0, v6
	s_movk_i32 s0, 0x40f
	v_cndmask_b32_e32 v6, v13, v14, vcc
	v_cmp_eq_u32_e32 vcc, s0, v11
	v_cndmask_b32_e32 v6, v7, v6, vcc
	v_lshrrev_b32_e32 v7, 16, v5
	s_mov_b32 s0, 0x8000
	v_and_or_b32 v6, v7, s0, v6
	global_store_short v[8:9], v6, off
.LBB7_1936:
	s_mov_b64 s[0:1], 0
.LBB7_1937:
	s_andn2_b64 vcc, exec, s[0:1]
	s_cbranch_vccnz .LBB7_1953
; %bb.1938:
	s_cmp_lt_i32 s15, 2
	s_mov_b64 s[0:1], -1
	s_cbranch_scc1 .LBB7_1948
; %bb.1939:
	s_cmp_lt_i32 s15, 3
	s_cbranch_scc1 .LBB7_1945
; %bb.1940:
	s_cmp_gt_i32 s15, 3
	s_cbranch_scc0 .LBB7_1942
; %bb.1941:
	v_trunc_f64_e32 v[6:7], v[4:5]
	s_movk_i32 s0, 0xffe0
	v_ldexp_f64 v[13:14], v[6:7], s0
	s_mov_b32 s0, 0
	s_mov_b32 s1, 0xc1f00000
	v_floor_f64_e32 v[13:14], v[13:14]
	v_fma_f64 v[6:7], v[13:14], s[0:1], v[6:7]
	v_cvt_i32_f64_e32 v14, v[13:14]
	s_mov_b64 s[0:1], 0
	v_cvt_u32_f64_e32 v13, v[6:7]
	global_store_dwordx2 v[8:9], v[13:14], off
.LBB7_1942:
	s_andn2_b64 vcc, exec, s[0:1]
	s_cbranch_vccnz .LBB7_1944
; %bb.1943:
	v_cvt_i32_f64_e32 v6, v[4:5]
	global_store_dword v[8:9], v6, off
.LBB7_1944:
	s_mov_b64 s[0:1], 0
.LBB7_1945:
	s_andn2_b64 vcc, exec, s[0:1]
	s_cbranch_vccnz .LBB7_1947
; %bb.1946:
	v_cvt_i32_f64_e32 v6, v[4:5]
	global_store_short v[8:9], v6, off
.LBB7_1947:
	s_mov_b64 s[0:1], 0
.LBB7_1948:
	s_andn2_b64 vcc, exec, s[0:1]
	s_cbranch_vccnz .LBB7_1953
; %bb.1949:
	s_cmp_gt_i32 s15, 0
	s_mov_b64 s[0:1], -1
	s_cbranch_scc0 .LBB7_1951
; %bb.1950:
	v_cvt_i32_f64_e32 v6, v[4:5]
	s_mov_b64 s[0:1], 0
	global_store_byte v[8:9], v6, off
.LBB7_1951:
	s_andn2_b64 vcc, exec, s[0:1]
	s_cbranch_vccnz .LBB7_1953
; %bb.1952:
	v_trunc_f64_e32 v[4:5], v[4:5]
	s_movk_i32 s0, 0xffe0
	v_ldexp_f64 v[6:7], v[4:5], s0
	s_mov_b32 s0, 0
	s_mov_b32 s1, 0xc1f00000
	v_floor_f64_e32 v[6:7], v[6:7]
	v_fma_f64 v[4:5], v[6:7], s[0:1], v[4:5]
	v_cvt_u32_f64_e32 v4, v[4:5]
	global_store_byte v[8:9], v4, off
.LBB7_1953:
	s_mov_b64 s[6:7], -1
.LBB7_1954:
	s_andn2_b64 vcc, exec, s[6:7]
	s_cbranch_vccnz .LBB7_2150
; %bb.1955:
	v_mov_b32_e32 v4, s9
	v_add_co_u32_e32 v6, vcc, s8, v12
	s_cmp_lt_i32 s15, 11
	v_addc_co_u32_e32 v7, vcc, 0, v4, vcc
	s_cbranch_scc1 .LBB7_2033
; %bb.1956:
	s_mov_b64 s[10:11], -1
	s_mov_b64 s[4:5], 0
	s_cmp_gt_i32 s15, 25
	s_mov_b64 s[6:7], 0
	s_mov_b64 s[0:1], 0
	s_cbranch_scc0 .LBB7_1989
; %bb.1957:
	s_cmp_gt_i32 s15, 28
	s_cbranch_scc0 .LBB7_1972
; %bb.1958:
	s_cmp_gt_i32 s15, 43
	;; [unrolled: 3-line block ×3, first 2 shown]
	s_cbranch_scc0 .LBB7_1962
; %bb.1960:
	s_mov_b64 s[0:1], -1
	s_mov_b64 s[10:11], 0
	s_cmp_eq_u32 s15, 46
	s_cbranch_scc0 .LBB7_1962
; %bb.1961:
	v_cvt_f32_f64_e32 v4, v[2:3]
	s_movk_i32 s0, 0x7fff
	v_mov_b32_e32 v5, 0x7fc0
	s_mov_b64 s[6:7], -1
	v_bfe_u32 v8, v4, 16, 1
	v_cmp_o_f32_e32 vcc, v4, v4
	v_add3_u32 v4, v4, v8, s0
	v_cndmask_b32_sdwa v4, v5, v4, vcc dst_sel:DWORD dst_unused:UNUSED_PAD src0_sel:DWORD src1_sel:WORD_1
	global_store_dword v[6:7], v4, off
	s_mov_b64 s[0:1], 0
.LBB7_1962:
	s_and_b64 vcc, exec, s[10:11]
	s_cbranch_vccz .LBB7_1967
; %bb.1963:
	s_cmp_eq_u32 s15, 44
	s_mov_b64 s[0:1], -1
	s_cbranch_scc0 .LBB7_1967
; %bb.1964:
	v_cvt_f32_f64_e32 v4, v[2:3]
	s_movk_i32 s0, 0xff
	v_mov_b32_e32 v8, 0xff
	v_bfe_u32 v5, v4, 23, 8
	v_cmp_ne_u32_e32 vcc, s0, v5
	s_and_saveexec_b64 s[6:7], vcc
; %bb.1965:
	s_mov_b32 s0, 0x3fffff
	v_lshrrev_b32_e32 v8, 23, v4
	v_and_b32_e32 v9, 0x400000, v4
	v_and_or_b32 v4, v4, s0, v5
	v_cmp_ne_u32_e32 vcc, 0, v9
	v_cmp_ne_u32_e64 s[0:1], 0, v4
	s_and_b64 s[0:1], vcc, s[0:1]
	v_cndmask_b32_e64 v4, 0, 1, s[0:1]
	v_add_u32_e32 v8, v8, v4
; %bb.1966:
	s_or_b64 exec, exec, s[6:7]
	s_mov_b64 s[0:1], 0
	s_mov_b64 s[6:7], -1
	global_store_byte v[6:7], v8, off
.LBB7_1967:
	s_mov_b64 s[10:11], 0
.LBB7_1968:
	s_and_b64 vcc, exec, s[10:11]
	s_cbranch_vccz .LBB7_1971
; %bb.1969:
	s_cmp_eq_u32 s15, 29
	s_mov_b64 s[0:1], -1
	s_cbranch_scc0 .LBB7_1971
; %bb.1970:
	v_trunc_f64_e32 v[4:5], v[2:3]
	s_movk_i32 s0, 0xffe0
	s_mov_b64 s[6:7], -1
	v_ldexp_f64 v[8:9], v[4:5], s0
	s_mov_b32 s0, 0
	s_mov_b32 s1, 0xc1f00000
	v_floor_f64_e32 v[8:9], v[8:9]
	v_fma_f64 v[4:5], v[8:9], s[0:1], v[4:5]
	v_cvt_u32_f64_e32 v9, v[8:9]
	s_mov_b64 s[0:1], 0
	v_cvt_u32_f64_e32 v8, v[4:5]
	global_store_dwordx2 v[6:7], v[8:9], off
.LBB7_1971:
	s_mov_b64 s[10:11], 0
.LBB7_1972:
	s_and_b64 vcc, exec, s[10:11]
	s_cbranch_vccz .LBB7_1988
; %bb.1973:
	s_cmp_lt_i32 s15, 27
	s_mov_b64 s[6:7], -1
	s_cbranch_scc1 .LBB7_1979
; %bb.1974:
	v_cvt_u32_f64_e32 v4, v[2:3]
	s_cmp_gt_i32 s15, 27
	s_cbranch_scc0 .LBB7_1976
; %bb.1975:
	s_mov_b64 s[6:7], 0
	global_store_dword v[6:7], v4, off
.LBB7_1976:
	s_andn2_b64 vcc, exec, s[6:7]
	s_cbranch_vccnz .LBB7_1978
; %bb.1977:
	global_store_short v[6:7], v4, off
.LBB7_1978:
	s_mov_b64 s[6:7], 0
.LBB7_1979:
	s_andn2_b64 vcc, exec, s[6:7]
	s_cbranch_vccnz .LBB7_1987
; %bb.1980:
	v_cvt_f32_f64_e32 v4, v[2:3]
	s_mov_b32 s6, 0x43800000
	v_mov_b32_e32 v8, 0x80
	v_and_b32_e32 v5, 0x7fffffff, v4
	v_cmp_gt_u32_e32 vcc, s6, v5
	s_and_saveexec_b64 s[6:7], vcc
	s_cbranch_execz .LBB7_1986
; %bb.1981:
	s_mov_b32 s10, 0x3bffffff
	v_cmp_lt_u32_e32 vcc, s10, v5
	s_mov_b64 s[10:11], 0
                                        ; implicit-def: $vgpr5
	s_and_saveexec_b64 s[12:13], vcc
	s_xor_b64 s[12:13], exec, s[12:13]
	s_cbranch_execz .LBB7_2163
; %bb.1982:
	v_bfe_u32 v5, v4, 20, 1
	s_mov_b32 s16, 0x487ffff
	v_add3_u32 v5, v4, v5, s16
	s_mov_b64 s[10:11], exec
	v_lshrrev_b32_e32 v5, 20, v5
	s_andn2_saveexec_b64 s[12:13], s[12:13]
	s_cbranch_execnz .LBB7_2164
.LBB7_1983:
	s_or_b64 exec, exec, s[12:13]
	v_mov_b32_e32 v8, 0
	s_and_saveexec_b64 s[12:13], s[10:11]
.LBB7_1984:
	v_lshrrev_b32_e32 v4, 24, v4
	s_movk_i32 s10, 0x80
	v_and_or_b32 v8, v4, s10, v5
.LBB7_1985:
	s_or_b64 exec, exec, s[12:13]
.LBB7_1986:
	s_or_b64 exec, exec, s[6:7]
	global_store_byte v[6:7], v8, off
.LBB7_1987:
	s_mov_b64 s[6:7], -1
.LBB7_1988:
	s_mov_b64 s[10:11], 0
.LBB7_1989:
	s_and_b64 vcc, exec, s[10:11]
	s_cbranch_vccz .LBB7_2029
; %bb.1990:
	s_cmp_gt_i32 s15, 22
	s_mov_b64 s[4:5], -1
	s_cbranch_scc0 .LBB7_2022
; %bb.1991:
	s_cmp_lt_i32 s15, 24
	s_cbranch_scc1 .LBB7_2011
; %bb.1992:
	s_cmp_gt_i32 s15, 24
	s_cbranch_scc0 .LBB7_2000
; %bb.1993:
	v_cvt_f32_f64_e32 v4, v[2:3]
	s_mov_b32 s4, 0x47800000
	v_mov_b32_e32 v8, 0x80
	v_and_b32_e32 v5, 0x7fffffff, v4
	v_cmp_gt_u32_e32 vcc, s4, v5
	s_and_saveexec_b64 s[4:5], vcc
	s_cbranch_execz .LBB7_1999
; %bb.1994:
	s_mov_b32 s6, 0x37ffffff
	v_cmp_lt_u32_e32 vcc, s6, v5
	s_mov_b64 s[6:7], 0
                                        ; implicit-def: $vgpr5
	s_and_saveexec_b64 s[10:11], vcc
	s_xor_b64 s[10:11], exec, s[10:11]
	s_cbranch_execz .LBB7_2166
; %bb.1995:
	v_bfe_u32 v5, v4, 21, 1
	s_mov_b32 s12, 0x88fffff
	v_add3_u32 v5, v4, v5, s12
	s_mov_b64 s[6:7], exec
	v_lshrrev_b32_e32 v5, 21, v5
	s_andn2_saveexec_b64 s[10:11], s[10:11]
	s_cbranch_execnz .LBB7_2167
.LBB7_1996:
	s_or_b64 exec, exec, s[10:11]
	v_mov_b32_e32 v8, 0
	s_and_saveexec_b64 s[10:11], s[6:7]
.LBB7_1997:
	v_lshrrev_b32_e32 v4, 24, v4
	s_movk_i32 s6, 0x80
	v_and_or_b32 v8, v4, s6, v5
.LBB7_1998:
	s_or_b64 exec, exec, s[10:11]
.LBB7_1999:
	s_or_b64 exec, exec, s[4:5]
	s_mov_b64 s[4:5], 0
	global_store_byte v[6:7], v8, off
.LBB7_2000:
	s_and_b64 vcc, exec, s[4:5]
	s_cbranch_vccz .LBB7_2010
; %bb.2001:
	v_cvt_f32_f64_e32 v4, v[2:3]
	s_mov_b32 s4, 0x43f00000
                                        ; implicit-def: $vgpr5
	v_and_b32_e32 v8, 0x7fffffff, v4
	v_cmp_gt_u32_e32 vcc, s4, v8
	s_and_saveexec_b64 s[4:5], vcc
	s_xor_b64 s[4:5], exec, s[4:5]
	s_cbranch_execz .LBB7_2007
; %bb.2002:
	s_mov_b32 s6, 0x3c7fffff
	v_cmp_lt_u32_e32 vcc, s6, v8
                                        ; implicit-def: $vgpr5
	s_and_saveexec_b64 s[6:7], vcc
	s_xor_b64 s[6:7], exec, s[6:7]
; %bb.2003:
	v_bfe_u32 v5, v4, 20, 1
	s_mov_b32 s10, 0x407ffff
	v_add3_u32 v5, v4, v5, s10
	v_lshrrev_b32_e32 v8, 20, v5
	v_and_b32_e32 v5, 0xff00000, v5
	s_mov_b32 s10, 0x7f00000
	v_mov_b32_e32 v9, 0x7e
	v_cmp_ne_u32_e32 vcc, s10, v5
	v_cndmask_b32_e32 v5, v9, v8, vcc
; %bb.2004:
	s_andn2_saveexec_b64 s[6:7], s[6:7]
; %bb.2005:
	s_mov_b32 s10, 0x46800000
	v_add_f32_e64 v5, |v4|, s10
; %bb.2006:
	s_or_b64 exec, exec, s[6:7]
                                        ; implicit-def: $vgpr8
.LBB7_2007:
	s_andn2_saveexec_b64 s[4:5], s[4:5]
; %bb.2008:
	s_mov_b32 s6, 0x7f800000
	v_mov_b32_e32 v5, 0x7e
	v_mov_b32_e32 v9, 0x7f
	v_cmp_lt_u32_e32 vcc, s6, v8
	v_cndmask_b32_e32 v5, v5, v9, vcc
; %bb.2009:
	s_or_b64 exec, exec, s[4:5]
	v_lshrrev_b32_e32 v4, 24, v4
	s_movk_i32 s4, 0x80
	v_and_or_b32 v4, v4, s4, v5
	global_store_byte v[6:7], v4, off
.LBB7_2010:
	s_mov_b64 s[4:5], 0
.LBB7_2011:
	s_andn2_b64 vcc, exec, s[4:5]
	s_cbranch_vccnz .LBB7_2021
; %bb.2012:
	v_cvt_f32_f64_e32 v4, v[2:3]
	s_mov_b32 s4, 0x47800000
                                        ; implicit-def: $vgpr5
	v_and_b32_e32 v8, 0x7fffffff, v4
	v_cmp_gt_u32_e32 vcc, s4, v8
	s_and_saveexec_b64 s[4:5], vcc
	s_xor_b64 s[4:5], exec, s[4:5]
	s_cbranch_execz .LBB7_2018
; %bb.2013:
	s_mov_b32 s6, 0x387fffff
	v_cmp_lt_u32_e32 vcc, s6, v8
                                        ; implicit-def: $vgpr5
	s_and_saveexec_b64 s[6:7], vcc
	s_xor_b64 s[6:7], exec, s[6:7]
; %bb.2014:
	v_bfe_u32 v5, v4, 21, 1
	s_mov_b32 s10, 0x80fffff
	v_add3_u32 v5, v4, v5, s10
	v_lshrrev_b32_e32 v5, 21, v5
; %bb.2015:
	s_andn2_saveexec_b64 s[6:7], s[6:7]
; %bb.2016:
	s_mov_b32 s10, 0x43000000
	v_add_f32_e64 v5, |v4|, s10
; %bb.2017:
	s_or_b64 exec, exec, s[6:7]
                                        ; implicit-def: $vgpr8
.LBB7_2018:
	s_andn2_saveexec_b64 s[4:5], s[4:5]
; %bb.2019:
	s_mov_b32 s6, 0x7f800000
	v_mov_b32_e32 v5, 0x7c
	v_mov_b32_e32 v9, 0x7f
	v_cmp_lt_u32_e32 vcc, s6, v8
	v_cndmask_b32_e32 v5, v5, v9, vcc
; %bb.2020:
	s_or_b64 exec, exec, s[4:5]
	v_lshrrev_b32_e32 v4, 24, v4
	s_movk_i32 s4, 0x80
	v_and_or_b32 v4, v4, s4, v5
	global_store_byte v[6:7], v4, off
.LBB7_2021:
	s_mov_b64 s[4:5], 0
	s_mov_b64 s[6:7], -1
.LBB7_2022:
	s_andn2_b64 vcc, exec, s[4:5]
	s_mov_b64 s[4:5], 0
	s_cbranch_vccnz .LBB7_2029
; %bb.2023:
	s_cmp_gt_i32 s15, 14
	s_mov_b64 s[10:11], -1
	s_cbranch_scc0 .LBB7_2027
; %bb.2024:
	s_cmp_eq_u32 s15, 15
	s_mov_b64 s[0:1], -1
	s_cbranch_scc0 .LBB7_2026
; %bb.2025:
	v_cvt_f32_f64_e32 v4, v[2:3]
	s_movk_i32 s0, 0x7fff
	v_mov_b32_e32 v5, 0x7fc0
	s_mov_b64 s[6:7], -1
	v_bfe_u32 v8, v4, 16, 1
	v_cmp_o_f32_e32 vcc, v4, v4
	v_add3_u32 v4, v4, v8, s0
	v_cndmask_b32_sdwa v4, v5, v4, vcc dst_sel:DWORD dst_unused:UNUSED_PAD src0_sel:DWORD src1_sel:WORD_1
	global_store_short v[6:7], v4, off
	s_mov_b64 s[0:1], 0
.LBB7_2026:
	s_mov_b64 s[10:11], 0
.LBB7_2027:
	s_and_b64 vcc, exec, s[10:11]
	s_cbranch_vccz .LBB7_2029
; %bb.2028:
	s_cmp_lg_u32 s15, 11
	s_mov_b64 s[4:5], -1
	s_cselect_b64 s[0:1], -1, 0
.LBB7_2029:
	s_and_b64 vcc, exec, s[0:1]
	s_cbranch_vccnz .LBB7_2165
; %bb.2030:
	s_andn2_b64 vcc, exec, s[4:5]
	s_cbranch_vccnz .LBB7_2032
.LBB7_2031:
	v_cmp_neq_f64_e32 vcc, 0, v[2:3]
	s_mov_b64 s[6:7], -1
	v_cndmask_b32_e64 v4, 0, 1, vcc
	global_store_byte v[6:7], v4, off
.LBB7_2032:
	s_mov_b64 s[0:1], 0
	s_branch .LBB7_2034
.LBB7_2033:
	s_mov_b64 s[0:1], -1
	s_mov_b64 s[6:7], 0
.LBB7_2034:
	s_and_b64 vcc, exec, s[0:1]
	s_cbranch_vccz .LBB7_2073
; %bb.2035:
	s_cmp_lt_i32 s15, 5
	s_mov_b64 s[0:1], -1
	s_cbranch_scc1 .LBB7_2056
; %bb.2036:
	s_cmp_lt_i32 s15, 8
	s_cbranch_scc1 .LBB7_2046
; %bb.2037:
	s_cmp_lt_i32 s15, 9
	s_cbranch_scc1 .LBB7_2043
; %bb.2038:
	s_cmp_gt_i32 s15, 9
	s_cbranch_scc0 .LBB7_2040
; %bb.2039:
	v_mov_b32_e32 v4, 0
	v_mov_b32_e32 v5, v4
	global_store_dwordx4 v[6:7], v[2:5], off
	s_mov_b64 s[0:1], 0
.LBB7_2040:
	s_andn2_b64 vcc, exec, s[0:1]
	s_cbranch_vccnz .LBB7_2042
; %bb.2041:
	v_cvt_f32_f64_e32 v4, v[2:3]
	v_mov_b32_e32 v5, 0
	global_store_dwordx2 v[6:7], v[4:5], off
.LBB7_2042:
	s_mov_b64 s[0:1], 0
.LBB7_2043:
	s_andn2_b64 vcc, exec, s[0:1]
	s_cbranch_vccnz .LBB7_2045
; %bb.2044:
	s_movk_i32 s0, 0x1ff
	v_and_or_b32 v4, v3, s0, v2
	v_cmp_ne_u32_e32 vcc, 0, v4
	v_cndmask_b32_e64 v4, 0, 1, vcc
	v_lshrrev_b32_e32 v5, 8, v3
	s_movk_i32 s0, 0xffe
	v_bfe_u32 v8, v3, 20, 11
	v_and_or_b32 v4, v5, s0, v4
	v_sub_u32_e32 v9, 0x3f1, v8
	v_or_b32_e32 v5, 0x1000, v4
	v_med3_i32 v9, v9, 0, 13
	v_lshrrev_b32_e32 v11, v9, v5
	v_lshlrev_b32_e32 v9, v9, v11
	v_cmp_ne_u32_e32 vcc, v9, v5
	v_cndmask_b32_e64 v5, 0, 1, vcc
	v_add_u32_e32 v8, 0xfffffc10, v8
	v_or_b32_e32 v5, v11, v5
	v_lshl_or_b32 v9, v8, 12, v4
	v_cmp_gt_i32_e32 vcc, 1, v8
	v_cndmask_b32_e32 v5, v9, v5, vcc
	v_and_b32_e32 v9, 7, v5
	v_cmp_lt_i32_e32 vcc, 5, v9
	v_cndmask_b32_e64 v11, 0, 1, vcc
	v_cmp_eq_u32_e32 vcc, 3, v9
	v_cndmask_b32_e64 v9, 0, 1, vcc
	v_or_b32_e32 v9, v9, v11
	v_lshrrev_b32_e32 v5, 2, v5
	v_add_u32_e32 v5, v5, v9
	v_mov_b32_e32 v9, 0x7c00
	v_cmp_gt_i32_e32 vcc, 31, v8
	v_cndmask_b32_e32 v5, v9, v5, vcc
	v_mov_b32_e32 v11, 0x7e00
	v_cmp_ne_u32_e32 vcc, 0, v4
	s_movk_i32 s0, 0x40f
	v_cndmask_b32_e32 v4, v9, v11, vcc
	v_cmp_eq_u32_e32 vcc, s0, v8
	v_cndmask_b32_e32 v4, v5, v4, vcc
	v_lshrrev_b32_e32 v5, 16, v3
	s_mov_b32 s0, 0x8000
	v_and_or_b32 v4, v5, s0, v4
	v_and_b32_e32 v4, 0xffff, v4
	global_store_dword v[6:7], v4, off
.LBB7_2045:
	s_mov_b64 s[0:1], 0
.LBB7_2046:
	s_andn2_b64 vcc, exec, s[0:1]
	s_cbranch_vccnz .LBB7_2055
; %bb.2047:
	s_cmp_lt_i32 s15, 6
	s_mov_b64 s[0:1], -1
	s_cbranch_scc1 .LBB7_2053
; %bb.2048:
	s_cmp_gt_i32 s15, 6
	s_cbranch_scc0 .LBB7_2050
; %bb.2049:
	global_store_dwordx2 v[6:7], v[2:3], off
	s_mov_b64 s[0:1], 0
.LBB7_2050:
	s_andn2_b64 vcc, exec, s[0:1]
	s_cbranch_vccnz .LBB7_2052
; %bb.2051:
	v_cvt_f32_f64_e32 v4, v[2:3]
	global_store_dword v[6:7], v4, off
.LBB7_2052:
	s_mov_b64 s[0:1], 0
.LBB7_2053:
	s_andn2_b64 vcc, exec, s[0:1]
	s_cbranch_vccnz .LBB7_2055
; %bb.2054:
	s_movk_i32 s0, 0x1ff
	v_and_or_b32 v4, v3, s0, v2
	v_cmp_ne_u32_e32 vcc, 0, v4
	v_cndmask_b32_e64 v4, 0, 1, vcc
	v_lshrrev_b32_e32 v5, 8, v3
	s_movk_i32 s0, 0xffe
	v_bfe_u32 v8, v3, 20, 11
	v_and_or_b32 v4, v5, s0, v4
	v_sub_u32_e32 v9, 0x3f1, v8
	v_or_b32_e32 v5, 0x1000, v4
	v_med3_i32 v9, v9, 0, 13
	v_lshrrev_b32_e32 v11, v9, v5
	v_lshlrev_b32_e32 v9, v9, v11
	v_cmp_ne_u32_e32 vcc, v9, v5
	v_cndmask_b32_e64 v5, 0, 1, vcc
	v_add_u32_e32 v8, 0xfffffc10, v8
	v_or_b32_e32 v5, v11, v5
	v_lshl_or_b32 v9, v8, 12, v4
	v_cmp_gt_i32_e32 vcc, 1, v8
	v_cndmask_b32_e32 v5, v9, v5, vcc
	v_and_b32_e32 v9, 7, v5
	v_cmp_lt_i32_e32 vcc, 5, v9
	v_cndmask_b32_e64 v11, 0, 1, vcc
	v_cmp_eq_u32_e32 vcc, 3, v9
	v_cndmask_b32_e64 v9, 0, 1, vcc
	v_or_b32_e32 v9, v9, v11
	v_lshrrev_b32_e32 v5, 2, v5
	v_add_u32_e32 v5, v5, v9
	v_mov_b32_e32 v9, 0x7c00
	v_cmp_gt_i32_e32 vcc, 31, v8
	v_cndmask_b32_e32 v5, v9, v5, vcc
	v_mov_b32_e32 v11, 0x7e00
	v_cmp_ne_u32_e32 vcc, 0, v4
	s_movk_i32 s0, 0x40f
	v_cndmask_b32_e32 v4, v9, v11, vcc
	v_cmp_eq_u32_e32 vcc, s0, v8
	v_cndmask_b32_e32 v4, v5, v4, vcc
	v_lshrrev_b32_e32 v5, 16, v3
	s_mov_b32 s0, 0x8000
	v_and_or_b32 v4, v5, s0, v4
	global_store_short v[6:7], v4, off
.LBB7_2055:
	s_mov_b64 s[0:1], 0
.LBB7_2056:
	s_andn2_b64 vcc, exec, s[0:1]
	s_cbranch_vccnz .LBB7_2072
; %bb.2057:
	s_cmp_lt_i32 s15, 2
	s_mov_b64 s[0:1], -1
	s_cbranch_scc1 .LBB7_2067
; %bb.2058:
	s_cmp_lt_i32 s15, 3
	s_cbranch_scc1 .LBB7_2064
; %bb.2059:
	s_cmp_gt_i32 s15, 3
	s_cbranch_scc0 .LBB7_2061
; %bb.2060:
	v_trunc_f64_e32 v[4:5], v[2:3]
	s_movk_i32 s0, 0xffe0
	v_ldexp_f64 v[8:9], v[4:5], s0
	s_mov_b32 s0, 0
	s_mov_b32 s1, 0xc1f00000
	v_floor_f64_e32 v[8:9], v[8:9]
	v_fma_f64 v[4:5], v[8:9], s[0:1], v[4:5]
	v_cvt_i32_f64_e32 v9, v[8:9]
	s_mov_b64 s[0:1], 0
	v_cvt_u32_f64_e32 v8, v[4:5]
	global_store_dwordx2 v[6:7], v[8:9], off
.LBB7_2061:
	s_andn2_b64 vcc, exec, s[0:1]
	s_cbranch_vccnz .LBB7_2063
; %bb.2062:
	v_cvt_i32_f64_e32 v4, v[2:3]
	global_store_dword v[6:7], v4, off
.LBB7_2063:
	s_mov_b64 s[0:1], 0
.LBB7_2064:
	s_andn2_b64 vcc, exec, s[0:1]
	s_cbranch_vccnz .LBB7_2066
; %bb.2065:
	v_cvt_i32_f64_e32 v4, v[2:3]
	global_store_short v[6:7], v4, off
.LBB7_2066:
	s_mov_b64 s[0:1], 0
.LBB7_2067:
	s_andn2_b64 vcc, exec, s[0:1]
	s_cbranch_vccnz .LBB7_2072
; %bb.2068:
	s_cmp_gt_i32 s15, 0
	s_mov_b64 s[0:1], -1
	s_cbranch_scc0 .LBB7_2070
; %bb.2069:
	v_cvt_i32_f64_e32 v4, v[2:3]
	s_mov_b64 s[0:1], 0
	global_store_byte v[6:7], v4, off
.LBB7_2070:
	s_andn2_b64 vcc, exec, s[0:1]
	s_cbranch_vccnz .LBB7_2072
; %bb.2071:
	v_trunc_f64_e32 v[2:3], v[2:3]
	s_movk_i32 s0, 0xffe0
	v_ldexp_f64 v[4:5], v[2:3], s0
	s_mov_b32 s0, 0
	s_mov_b32 s1, 0xc1f00000
	v_floor_f64_e32 v[4:5], v[4:5]
	v_fma_f64 v[2:3], v[4:5], s[0:1], v[2:3]
	v_cvt_u32_f64_e32 v2, v[2:3]
	global_store_byte v[6:7], v2, off
.LBB7_2072:
	s_mov_b64 s[6:7], -1
.LBB7_2073:
	s_andn2_b64 vcc, exec, s[6:7]
	s_cbranch_vccnz .LBB7_2150
; %bb.2074:
	v_mov_b32_e32 v2, s9
	v_add_co_u32_e32 v4, vcc, s8, v10
	s_cmp_lt_i32 s15, 11
	v_addc_co_u32_e32 v5, vcc, 0, v2, vcc
	s_cbranch_scc1 .LBB7_2151
; %bb.2075:
	s_mov_b64 s[6:7], -1
	s_mov_b64 s[4:5], 0
	s_cmp_gt_i32 s15, 25
	s_mov_b64 s[0:1], 0
	s_cbranch_scc0 .LBB7_2108
; %bb.2076:
	s_cmp_gt_i32 s15, 28
	s_cbranch_scc0 .LBB7_2092
; %bb.2077:
	s_cmp_gt_i32 s15, 43
	;; [unrolled: 3-line block ×3, first 2 shown]
	s_cbranch_scc0 .LBB7_2082
; %bb.2079:
	s_cmp_eq_u32 s15, 46
	s_mov_b64 s[0:1], -1
	s_cbranch_scc0 .LBB7_2081
; %bb.2080:
	v_cvt_f32_f64_e32 v2, v[0:1]
	s_movk_i32 s0, 0x7fff
	v_mov_b32_e32 v3, 0x7fc0
	v_bfe_u32 v6, v2, 16, 1
	v_cmp_o_f32_e32 vcc, v2, v2
	v_add3_u32 v2, v2, v6, s0
	v_cndmask_b32_sdwa v2, v3, v2, vcc dst_sel:DWORD dst_unused:UNUSED_PAD src0_sel:DWORD src1_sel:WORD_1
	global_store_dword v[4:5], v2, off
	s_mov_b64 s[0:1], 0
.LBB7_2081:
	s_mov_b64 s[6:7], 0
.LBB7_2082:
	s_and_b64 vcc, exec, s[6:7]
	s_cbranch_vccz .LBB7_2087
; %bb.2083:
	s_cmp_eq_u32 s15, 44
	s_mov_b64 s[0:1], -1
	s_cbranch_scc0 .LBB7_2087
; %bb.2084:
	v_cvt_f32_f64_e32 v2, v[0:1]
	s_movk_i32 s0, 0xff
	v_mov_b32_e32 v6, 0xff
	v_bfe_u32 v3, v2, 23, 8
	v_cmp_ne_u32_e32 vcc, s0, v3
	s_and_saveexec_b64 s[6:7], vcc
; %bb.2085:
	s_mov_b32 s0, 0x3fffff
	v_lshrrev_b32_e32 v6, 23, v2
	v_and_b32_e32 v7, 0x400000, v2
	v_and_or_b32 v2, v2, s0, v3
	v_cmp_ne_u32_e32 vcc, 0, v7
	v_cmp_ne_u32_e64 s[0:1], 0, v2
	s_and_b64 s[0:1], vcc, s[0:1]
	v_cndmask_b32_e64 v2, 0, 1, s[0:1]
	v_add_u32_e32 v6, v6, v2
; %bb.2086:
	s_or_b64 exec, exec, s[6:7]
	s_mov_b64 s[0:1], 0
	global_store_byte v[4:5], v6, off
.LBB7_2087:
	s_mov_b64 s[6:7], 0
.LBB7_2088:
	s_and_b64 vcc, exec, s[6:7]
	s_cbranch_vccz .LBB7_2091
; %bb.2089:
	s_cmp_eq_u32 s15, 29
	s_mov_b64 s[0:1], -1
	s_cbranch_scc0 .LBB7_2091
; %bb.2090:
	v_trunc_f64_e32 v[2:3], v[0:1]
	s_movk_i32 s0, 0xffe0
	v_ldexp_f64 v[6:7], v[2:3], s0
	s_mov_b32 s0, 0
	s_mov_b32 s1, 0xc1f00000
	v_floor_f64_e32 v[6:7], v[6:7]
	v_fma_f64 v[2:3], v[6:7], s[0:1], v[2:3]
	v_cvt_u32_f64_e32 v7, v[6:7]
	s_mov_b64 s[0:1], 0
	v_cvt_u32_f64_e32 v6, v[2:3]
	global_store_dwordx2 v[4:5], v[6:7], off
.LBB7_2091:
	s_mov_b64 s[6:7], 0
.LBB7_2092:
	s_and_b64 vcc, exec, s[6:7]
	s_cbranch_vccz .LBB7_2107
; %bb.2093:
	s_cmp_lt_i32 s15, 27
	s_mov_b64 s[6:7], -1
	s_cbranch_scc1 .LBB7_2099
; %bb.2094:
	s_cmp_gt_i32 s15, 27
	s_cbranch_scc0 .LBB7_2096
; %bb.2095:
	v_cvt_u32_f64_e32 v2, v[0:1]
	s_mov_b64 s[6:7], 0
	global_store_dword v[4:5], v2, off
.LBB7_2096:
	s_andn2_b64 vcc, exec, s[6:7]
	s_cbranch_vccnz .LBB7_2098
; %bb.2097:
	v_cvt_u32_f64_e32 v2, v[0:1]
	global_store_short v[4:5], v2, off
.LBB7_2098:
	s_mov_b64 s[6:7], 0
.LBB7_2099:
	s_andn2_b64 vcc, exec, s[6:7]
	s_cbranch_vccnz .LBB7_2107
; %bb.2100:
	v_cvt_f32_f64_e32 v2, v[0:1]
	s_mov_b32 s6, 0x43800000
	v_mov_b32_e32 v6, 0x80
	v_and_b32_e32 v3, 0x7fffffff, v2
	v_cmp_gt_u32_e32 vcc, s6, v3
	s_and_saveexec_b64 s[6:7], vcc
	s_cbranch_execz .LBB7_2106
; %bb.2101:
	s_mov_b32 s8, 0x3bffffff
	v_cmp_lt_u32_e32 vcc, s8, v3
	s_mov_b64 s[8:9], 0
                                        ; implicit-def: $vgpr3
	s_and_saveexec_b64 s[10:11], vcc
	s_xor_b64 s[10:11], exec, s[10:11]
	s_cbranch_execz .LBB7_2168
; %bb.2102:
	v_bfe_u32 v3, v2, 20, 1
	s_mov_b32 s12, 0x487ffff
	v_add3_u32 v3, v2, v3, s12
	s_mov_b64 s[8:9], exec
	v_lshrrev_b32_e32 v3, 20, v3
	s_andn2_saveexec_b64 s[10:11], s[10:11]
	s_cbranch_execnz .LBB7_2169
.LBB7_2103:
	s_or_b64 exec, exec, s[10:11]
	v_mov_b32_e32 v6, 0
	s_and_saveexec_b64 s[10:11], s[8:9]
.LBB7_2104:
	v_lshrrev_b32_e32 v2, 24, v2
	s_movk_i32 s8, 0x80
	v_and_or_b32 v6, v2, s8, v3
.LBB7_2105:
	s_or_b64 exec, exec, s[10:11]
.LBB7_2106:
	s_or_b64 exec, exec, s[6:7]
	global_store_byte v[4:5], v6, off
.LBB7_2107:
	s_mov_b64 s[6:7], 0
.LBB7_2108:
	s_and_b64 vcc, exec, s[6:7]
	s_cbranch_vccz .LBB7_2148
; %bb.2109:
	s_cmp_gt_i32 s15, 22
	s_mov_b64 s[4:5], -1
	s_cbranch_scc0 .LBB7_2141
; %bb.2110:
	s_cmp_lt_i32 s15, 24
	s_cbranch_scc1 .LBB7_2130
; %bb.2111:
	s_cmp_gt_i32 s15, 24
	s_cbranch_scc0 .LBB7_2119
; %bb.2112:
	v_cvt_f32_f64_e32 v2, v[0:1]
	s_mov_b32 s4, 0x47800000
	v_mov_b32_e32 v6, 0x80
	v_and_b32_e32 v3, 0x7fffffff, v2
	v_cmp_gt_u32_e32 vcc, s4, v3
	s_and_saveexec_b64 s[4:5], vcc
	s_cbranch_execz .LBB7_2118
; %bb.2113:
	s_mov_b32 s6, 0x37ffffff
	v_cmp_lt_u32_e32 vcc, s6, v3
	s_mov_b64 s[6:7], 0
                                        ; implicit-def: $vgpr3
	s_and_saveexec_b64 s[8:9], vcc
	s_xor_b64 s[8:9], exec, s[8:9]
	s_cbranch_execz .LBB7_2171
; %bb.2114:
	v_bfe_u32 v3, v2, 21, 1
	s_mov_b32 s10, 0x88fffff
	v_add3_u32 v3, v2, v3, s10
	s_mov_b64 s[6:7], exec
	v_lshrrev_b32_e32 v3, 21, v3
	s_andn2_saveexec_b64 s[8:9], s[8:9]
	s_cbranch_execnz .LBB7_2172
.LBB7_2115:
	s_or_b64 exec, exec, s[8:9]
	v_mov_b32_e32 v6, 0
	s_and_saveexec_b64 s[8:9], s[6:7]
.LBB7_2116:
	v_lshrrev_b32_e32 v2, 24, v2
	s_movk_i32 s6, 0x80
	v_and_or_b32 v6, v2, s6, v3
.LBB7_2117:
	s_or_b64 exec, exec, s[8:9]
.LBB7_2118:
	s_or_b64 exec, exec, s[4:5]
	s_mov_b64 s[4:5], 0
	global_store_byte v[4:5], v6, off
.LBB7_2119:
	s_and_b64 vcc, exec, s[4:5]
	s_cbranch_vccz .LBB7_2129
; %bb.2120:
	v_cvt_f32_f64_e32 v2, v[0:1]
	s_mov_b32 s4, 0x43f00000
                                        ; implicit-def: $vgpr3
	v_and_b32_e32 v6, 0x7fffffff, v2
	v_cmp_gt_u32_e32 vcc, s4, v6
	s_and_saveexec_b64 s[4:5], vcc
	s_xor_b64 s[4:5], exec, s[4:5]
	s_cbranch_execz .LBB7_2126
; %bb.2121:
	s_mov_b32 s6, 0x3c7fffff
	v_cmp_lt_u32_e32 vcc, s6, v6
                                        ; implicit-def: $vgpr3
	s_and_saveexec_b64 s[6:7], vcc
	s_xor_b64 s[6:7], exec, s[6:7]
; %bb.2122:
	v_bfe_u32 v3, v2, 20, 1
	s_mov_b32 s8, 0x407ffff
	v_add3_u32 v3, v2, v3, s8
	v_lshrrev_b32_e32 v6, 20, v3
	v_and_b32_e32 v3, 0xff00000, v3
	s_mov_b32 s8, 0x7f00000
	v_mov_b32_e32 v7, 0x7e
	v_cmp_ne_u32_e32 vcc, s8, v3
	v_cndmask_b32_e32 v3, v7, v6, vcc
; %bb.2123:
	s_andn2_saveexec_b64 s[6:7], s[6:7]
; %bb.2124:
	s_mov_b32 s8, 0x46800000
	v_add_f32_e64 v3, |v2|, s8
; %bb.2125:
	s_or_b64 exec, exec, s[6:7]
                                        ; implicit-def: $vgpr6
.LBB7_2126:
	s_andn2_saveexec_b64 s[4:5], s[4:5]
; %bb.2127:
	s_mov_b32 s6, 0x7f800000
	v_mov_b32_e32 v3, 0x7e
	v_mov_b32_e32 v7, 0x7f
	v_cmp_lt_u32_e32 vcc, s6, v6
	v_cndmask_b32_e32 v3, v3, v7, vcc
; %bb.2128:
	s_or_b64 exec, exec, s[4:5]
	v_lshrrev_b32_e32 v2, 24, v2
	s_movk_i32 s4, 0x80
	v_and_or_b32 v2, v2, s4, v3
	global_store_byte v[4:5], v2, off
.LBB7_2129:
	s_mov_b64 s[4:5], 0
.LBB7_2130:
	s_andn2_b64 vcc, exec, s[4:5]
	s_cbranch_vccnz .LBB7_2140
; %bb.2131:
	v_cvt_f32_f64_e32 v2, v[0:1]
	s_mov_b32 s4, 0x47800000
                                        ; implicit-def: $vgpr3
	v_and_b32_e32 v6, 0x7fffffff, v2
	v_cmp_gt_u32_e32 vcc, s4, v6
	s_and_saveexec_b64 s[4:5], vcc
	s_xor_b64 s[4:5], exec, s[4:5]
	s_cbranch_execz .LBB7_2137
; %bb.2132:
	s_mov_b32 s6, 0x387fffff
	v_cmp_lt_u32_e32 vcc, s6, v6
                                        ; implicit-def: $vgpr3
	s_and_saveexec_b64 s[6:7], vcc
	s_xor_b64 s[6:7], exec, s[6:7]
; %bb.2133:
	v_bfe_u32 v3, v2, 21, 1
	s_mov_b32 s8, 0x80fffff
	v_add3_u32 v3, v2, v3, s8
	v_lshrrev_b32_e32 v3, 21, v3
; %bb.2134:
	s_andn2_saveexec_b64 s[6:7], s[6:7]
; %bb.2135:
	s_mov_b32 s8, 0x43000000
	v_add_f32_e64 v3, |v2|, s8
; %bb.2136:
	s_or_b64 exec, exec, s[6:7]
                                        ; implicit-def: $vgpr6
.LBB7_2137:
	s_andn2_saveexec_b64 s[4:5], s[4:5]
; %bb.2138:
	s_mov_b32 s6, 0x7f800000
	v_mov_b32_e32 v3, 0x7c
	v_mov_b32_e32 v7, 0x7f
	v_cmp_lt_u32_e32 vcc, s6, v6
	v_cndmask_b32_e32 v3, v3, v7, vcc
; %bb.2139:
	s_or_b64 exec, exec, s[4:5]
	v_lshrrev_b32_e32 v2, 24, v2
	s_movk_i32 s4, 0x80
	v_and_or_b32 v2, v2, s4, v3
	global_store_byte v[4:5], v2, off
.LBB7_2140:
	s_mov_b64 s[4:5], 0
.LBB7_2141:
	s_andn2_b64 vcc, exec, s[4:5]
	s_mov_b64 s[4:5], 0
	s_cbranch_vccnz .LBB7_2148
; %bb.2142:
	s_cmp_gt_i32 s15, 14
	s_mov_b64 s[6:7], -1
	s_cbranch_scc0 .LBB7_2146
; %bb.2143:
	s_cmp_eq_u32 s15, 15
	s_mov_b64 s[0:1], -1
	s_cbranch_scc0 .LBB7_2145
; %bb.2144:
	v_cvt_f32_f64_e32 v2, v[0:1]
	s_movk_i32 s0, 0x7fff
	v_mov_b32_e32 v3, 0x7fc0
	v_bfe_u32 v6, v2, 16, 1
	v_cmp_o_f32_e32 vcc, v2, v2
	v_add3_u32 v2, v2, v6, s0
	v_cndmask_b32_sdwa v2, v3, v2, vcc dst_sel:DWORD dst_unused:UNUSED_PAD src0_sel:DWORD src1_sel:WORD_1
	global_store_short v[4:5], v2, off
	s_mov_b64 s[0:1], 0
.LBB7_2145:
	s_mov_b64 s[6:7], 0
.LBB7_2146:
	s_and_b64 vcc, exec, s[6:7]
	s_cbranch_vccz .LBB7_2148
; %bb.2147:
	s_cmp_lg_u32 s15, 11
	s_mov_b64 s[4:5], -1
	s_cselect_b64 s[0:1], -1, 0
.LBB7_2148:
	s_and_b64 vcc, exec, s[0:1]
	s_cbranch_vccnz .LBB7_2170
.LBB7_2149:
	s_mov_b64 s[0:1], 0
	s_branch .LBB7_1751
.LBB7_2150:
	s_mov_b64 s[0:1], 0
                                        ; implicit-def: $vgpr4_vgpr5
                                        ; implicit-def: $sgpr14
	s_branch .LBB7_1750
.LBB7_2151:
	s_mov_b64 s[4:5], 0
	s_mov_b64 s[0:1], -1
	s_branch .LBB7_1751
.LBB7_2152:
	s_trap 2
	s_or_b64 s[2:3], s[2:3], exec
	s_cbranch_execz .LBB7_1617
	s_branch .LBB7_1618
.LBB7_2153:
	s_andn2_saveexec_b64 s[12:13], s[12:13]
	s_cbranch_execz .LBB7_1699
.LBB7_2154:
	s_mov_b32 s16, 0x46000000
	v_add_f32_e64 v9, |v8|, s16
	v_and_b32_e32 v9, 0xff, v9
	v_cmp_ne_u32_e32 vcc, 0, v9
	s_andn2_b64 s[10:11], s[10:11], exec
	s_and_b64 s[16:17], vcc, exec
	s_or_b64 s[10:11], s[10:11], s[16:17]
	s_or_b64 exec, exec, s[12:13]
	v_mov_b32_e32 v11, 0
	s_and_saveexec_b64 s[12:13], s[10:11]
	s_cbranch_execnz .LBB7_1700
	s_branch .LBB7_1701
.LBB7_2155:
	s_trap 2
	s_or_b64 s[2:3], s[2:3], exec
	s_cbranch_execz .LBB7_1747
	s_branch .LBB7_1748
.LBB7_2156:
	s_andn2_saveexec_b64 s[10:11], s[10:11]
	s_cbranch_execz .LBB7_1712
.LBB7_2157:
	s_mov_b32 s12, 0x42800000
	v_add_f32_e64 v9, |v8|, s12
	v_and_b32_e32 v9, 0xff, v9
	v_cmp_ne_u32_e32 vcc, 0, v9
	s_andn2_b64 s[6:7], s[6:7], exec
	s_and_b64 s[12:13], vcc, exec
	s_or_b64 s[6:7], s[6:7], s[12:13]
	s_or_b64 exec, exec, s[10:11]
	v_mov_b32_e32 v11, 0
	s_and_saveexec_b64 s[10:11], s[6:7]
	s_cbranch_execnz .LBB7_1713
	s_branch .LBB7_1714
.LBB7_2158:
	s_andn2_saveexec_b64 s[12:13], s[12:13]
	s_cbranch_execz .LBB7_1864
.LBB7_2159:
	s_mov_b32 s16, 0x46000000
	v_add_f32_e64 v7, |v6|, s16
	v_and_b32_e32 v7, 0xff, v7
	v_cmp_ne_u32_e32 vcc, 0, v7
	s_andn2_b64 s[10:11], s[10:11], exec
	s_and_b64 s[16:17], vcc, exec
	s_or_b64 s[10:11], s[10:11], s[16:17]
	s_or_b64 exec, exec, s[12:13]
	v_mov_b32_e32 v11, 0
	s_and_saveexec_b64 s[12:13], s[10:11]
	s_cbranch_execnz .LBB7_1865
	s_branch .LBB7_1866
.LBB7_2160:
	s_trap 2
	s_or_b64 s[2:3], s[2:3], exec
	s_cbranch_execz .LBB7_1912
	s_branch .LBB7_1913
.LBB7_2161:
	s_andn2_saveexec_b64 s[10:11], s[10:11]
	s_cbranch_execz .LBB7_1877
.LBB7_2162:
	s_mov_b32 s12, 0x42800000
	v_add_f32_e64 v7, |v6|, s12
	v_and_b32_e32 v7, 0xff, v7
	v_cmp_ne_u32_e32 vcc, 0, v7
	s_andn2_b64 s[6:7], s[6:7], exec
	s_and_b64 s[12:13], vcc, exec
	s_or_b64 s[6:7], s[6:7], s[12:13]
	s_or_b64 exec, exec, s[10:11]
	v_mov_b32_e32 v11, 0
	s_and_saveexec_b64 s[10:11], s[6:7]
	s_cbranch_execnz .LBB7_1878
	s_branch .LBB7_1879
.LBB7_2163:
	s_andn2_saveexec_b64 s[12:13], s[12:13]
	s_cbranch_execz .LBB7_1983
.LBB7_2164:
	s_mov_b32 s16, 0x46000000
	v_add_f32_e64 v5, |v4|, s16
	v_and_b32_e32 v5, 0xff, v5
	v_cmp_ne_u32_e32 vcc, 0, v5
	s_andn2_b64 s[10:11], s[10:11], exec
	s_and_b64 s[16:17], vcc, exec
	s_or_b64 s[10:11], s[10:11], s[16:17]
	s_or_b64 exec, exec, s[12:13]
	v_mov_b32_e32 v8, 0
	s_and_saveexec_b64 s[12:13], s[10:11]
	s_cbranch_execnz .LBB7_1984
	s_branch .LBB7_1985
.LBB7_2165:
	s_trap 2
	s_or_b64 s[2:3], s[2:3], exec
	s_cbranch_execz .LBB7_2031
	s_branch .LBB7_2032
.LBB7_2166:
	s_andn2_saveexec_b64 s[10:11], s[10:11]
	s_cbranch_execz .LBB7_1996
.LBB7_2167:
	s_mov_b32 s12, 0x42800000
	v_add_f32_e64 v5, |v4|, s12
	v_and_b32_e32 v5, 0xff, v5
	v_cmp_ne_u32_e32 vcc, 0, v5
	s_andn2_b64 s[6:7], s[6:7], exec
	s_and_b64 s[12:13], vcc, exec
	s_or_b64 s[6:7], s[6:7], s[12:13]
	s_or_b64 exec, exec, s[10:11]
	v_mov_b32_e32 v8, 0
	s_and_saveexec_b64 s[10:11], s[6:7]
	s_cbranch_execnz .LBB7_1997
	s_branch .LBB7_1998
.LBB7_2168:
	s_andn2_saveexec_b64 s[10:11], s[10:11]
	s_cbranch_execz .LBB7_2103
.LBB7_2169:
	s_mov_b32 s12, 0x46000000
	v_add_f32_e64 v3, |v2|, s12
	v_and_b32_e32 v3, 0xff, v3
	v_cmp_ne_u32_e32 vcc, 0, v3
	s_andn2_b64 s[8:9], s[8:9], exec
	s_and_b64 s[12:13], vcc, exec
	s_or_b64 s[8:9], s[8:9], s[12:13]
	s_or_b64 exec, exec, s[10:11]
	v_mov_b32_e32 v6, 0
	s_and_saveexec_b64 s[10:11], s[8:9]
	s_cbranch_execnz .LBB7_2104
	s_branch .LBB7_2105
.LBB7_2170:
	s_mov_b64 s[4:5], 0
	s_or_b64 s[2:3], s[2:3], exec
	s_trap 2
	s_branch .LBB7_2149
.LBB7_2171:
	s_andn2_saveexec_b64 s[8:9], s[8:9]
	s_cbranch_execz .LBB7_2115
.LBB7_2172:
	s_mov_b32 s10, 0x42800000
	v_add_f32_e64 v3, |v2|, s10
	v_and_b32_e32 v3, 0xff, v3
	v_cmp_ne_u32_e32 vcc, 0, v3
	s_andn2_b64 s[6:7], s[6:7], exec
	s_and_b64 s[10:11], vcc, exec
	s_or_b64 s[6:7], s[6:7], s[10:11]
	s_or_b64 exec, exec, s[8:9]
	v_mov_b32_e32 v6, 0
	s_and_saveexec_b64 s[8:9], s[6:7]
	s_cbranch_execnz .LBB7_2116
	s_branch .LBB7_2117
	.section	.rodata,"a",@progbits
	.p2align	6, 0x0
	.amdhsa_kernel _ZN2at6native32elementwise_kernel_manual_unrollILi128ELi4EZNS0_15gpu_kernel_implIZZZNS0_12_GLOBAL__N_124renorm_scale_factor_implERNS_18TensorIteratorBaseEdENKUlvE_clEvENKUlvE_clEvEUldE_EEvS5_RKT_EUlibE0_EEviT1_
		.amdhsa_group_segment_fixed_size 0
		.amdhsa_private_segment_fixed_size 0
		.amdhsa_kernarg_size 368
		.amdhsa_user_sgpr_count 6
		.amdhsa_user_sgpr_private_segment_buffer 1
		.amdhsa_user_sgpr_dispatch_ptr 0
		.amdhsa_user_sgpr_queue_ptr 0
		.amdhsa_user_sgpr_kernarg_segment_ptr 1
		.amdhsa_user_sgpr_dispatch_id 0
		.amdhsa_user_sgpr_flat_scratch_init 0
		.amdhsa_user_sgpr_private_segment_size 0
		.amdhsa_uses_dynamic_stack 0
		.amdhsa_system_sgpr_private_segment_wavefront_offset 0
		.amdhsa_system_sgpr_workgroup_id_x 1
		.amdhsa_system_sgpr_workgroup_id_y 0
		.amdhsa_system_sgpr_workgroup_id_z 0
		.amdhsa_system_sgpr_workgroup_info 0
		.amdhsa_system_vgpr_workitem_id 0
		.amdhsa_next_free_vgpr 23
		.amdhsa_next_free_sgpr 80
		.amdhsa_reserve_vcc 1
		.amdhsa_reserve_flat_scratch 0
		.amdhsa_float_round_mode_32 0
		.amdhsa_float_round_mode_16_64 0
		.amdhsa_float_denorm_mode_32 3
		.amdhsa_float_denorm_mode_16_64 3
		.amdhsa_dx10_clamp 1
		.amdhsa_ieee_mode 1
		.amdhsa_fp16_overflow 0
		.amdhsa_exception_fp_ieee_invalid_op 0
		.amdhsa_exception_fp_denorm_src 0
		.amdhsa_exception_fp_ieee_div_zero 0
		.amdhsa_exception_fp_ieee_overflow 0
		.amdhsa_exception_fp_ieee_underflow 0
		.amdhsa_exception_fp_ieee_inexact 0
		.amdhsa_exception_int_div_zero 0
	.end_amdhsa_kernel
	.section	.text._ZN2at6native32elementwise_kernel_manual_unrollILi128ELi4EZNS0_15gpu_kernel_implIZZZNS0_12_GLOBAL__N_124renorm_scale_factor_implERNS_18TensorIteratorBaseEdENKUlvE_clEvENKUlvE_clEvEUldE_EEvS5_RKT_EUlibE0_EEviT1_,"axG",@progbits,_ZN2at6native32elementwise_kernel_manual_unrollILi128ELi4EZNS0_15gpu_kernel_implIZZZNS0_12_GLOBAL__N_124renorm_scale_factor_implERNS_18TensorIteratorBaseEdENKUlvE_clEvENKUlvE_clEvEUldE_EEvS5_RKT_EUlibE0_EEviT1_,comdat
.Lfunc_end7:
	.size	_ZN2at6native32elementwise_kernel_manual_unrollILi128ELi4EZNS0_15gpu_kernel_implIZZZNS0_12_GLOBAL__N_124renorm_scale_factor_implERNS_18TensorIteratorBaseEdENKUlvE_clEvENKUlvE_clEvEUldE_EEvS5_RKT_EUlibE0_EEviT1_, .Lfunc_end7-_ZN2at6native32elementwise_kernel_manual_unrollILi128ELi4EZNS0_15gpu_kernel_implIZZZNS0_12_GLOBAL__N_124renorm_scale_factor_implERNS_18TensorIteratorBaseEdENKUlvE_clEvENKUlvE_clEvEUldE_EEvS5_RKT_EUlibE0_EEviT1_
                                        ; -- End function
	.set _ZN2at6native32elementwise_kernel_manual_unrollILi128ELi4EZNS0_15gpu_kernel_implIZZZNS0_12_GLOBAL__N_124renorm_scale_factor_implERNS_18TensorIteratorBaseEdENKUlvE_clEvENKUlvE_clEvEUldE_EEvS5_RKT_EUlibE0_EEviT1_.num_vgpr, 23
	.set _ZN2at6native32elementwise_kernel_manual_unrollILi128ELi4EZNS0_15gpu_kernel_implIZZZNS0_12_GLOBAL__N_124renorm_scale_factor_implERNS_18TensorIteratorBaseEdENKUlvE_clEvENKUlvE_clEvEUldE_EEvS5_RKT_EUlibE0_EEviT1_.num_agpr, 0
	.set _ZN2at6native32elementwise_kernel_manual_unrollILi128ELi4EZNS0_15gpu_kernel_implIZZZNS0_12_GLOBAL__N_124renorm_scale_factor_implERNS_18TensorIteratorBaseEdENKUlvE_clEvENKUlvE_clEvEUldE_EEvS5_RKT_EUlibE0_EEviT1_.numbered_sgpr, 80
	.set _ZN2at6native32elementwise_kernel_manual_unrollILi128ELi4EZNS0_15gpu_kernel_implIZZZNS0_12_GLOBAL__N_124renorm_scale_factor_implERNS_18TensorIteratorBaseEdENKUlvE_clEvENKUlvE_clEvEUldE_EEvS5_RKT_EUlibE0_EEviT1_.num_named_barrier, 0
	.set _ZN2at6native32elementwise_kernel_manual_unrollILi128ELi4EZNS0_15gpu_kernel_implIZZZNS0_12_GLOBAL__N_124renorm_scale_factor_implERNS_18TensorIteratorBaseEdENKUlvE_clEvENKUlvE_clEvEUldE_EEvS5_RKT_EUlibE0_EEviT1_.private_seg_size, 0
	.set _ZN2at6native32elementwise_kernel_manual_unrollILi128ELi4EZNS0_15gpu_kernel_implIZZZNS0_12_GLOBAL__N_124renorm_scale_factor_implERNS_18TensorIteratorBaseEdENKUlvE_clEvENKUlvE_clEvEUldE_EEvS5_RKT_EUlibE0_EEviT1_.uses_vcc, 1
	.set _ZN2at6native32elementwise_kernel_manual_unrollILi128ELi4EZNS0_15gpu_kernel_implIZZZNS0_12_GLOBAL__N_124renorm_scale_factor_implERNS_18TensorIteratorBaseEdENKUlvE_clEvENKUlvE_clEvEUldE_EEvS5_RKT_EUlibE0_EEviT1_.uses_flat_scratch, 0
	.set _ZN2at6native32elementwise_kernel_manual_unrollILi128ELi4EZNS0_15gpu_kernel_implIZZZNS0_12_GLOBAL__N_124renorm_scale_factor_implERNS_18TensorIteratorBaseEdENKUlvE_clEvENKUlvE_clEvEUldE_EEvS5_RKT_EUlibE0_EEviT1_.has_dyn_sized_stack, 0
	.set _ZN2at6native32elementwise_kernel_manual_unrollILi128ELi4EZNS0_15gpu_kernel_implIZZZNS0_12_GLOBAL__N_124renorm_scale_factor_implERNS_18TensorIteratorBaseEdENKUlvE_clEvENKUlvE_clEvEUldE_EEvS5_RKT_EUlibE0_EEviT1_.has_recursion, 0
	.set _ZN2at6native32elementwise_kernel_manual_unrollILi128ELi4EZNS0_15gpu_kernel_implIZZZNS0_12_GLOBAL__N_124renorm_scale_factor_implERNS_18TensorIteratorBaseEdENKUlvE_clEvENKUlvE_clEvEUldE_EEvS5_RKT_EUlibE0_EEviT1_.has_indirect_call, 0
	.section	.AMDGPU.csdata,"",@progbits
; Kernel info:
; codeLenInByte = 41812
; TotalNumSgprs: 84
; NumVgprs: 23
; ScratchSize: 0
; MemoryBound: 1
; FloatMode: 240
; IeeeMode: 1
; LDSByteSize: 0 bytes/workgroup (compile time only)
; SGPRBlocks: 10
; VGPRBlocks: 5
; NumSGPRsForWavesPerEU: 84
; NumVGPRsForWavesPerEU: 23
; Occupancy: 9
; WaveLimiterHint : 1
; COMPUTE_PGM_RSRC2:SCRATCH_EN: 0
; COMPUTE_PGM_RSRC2:USER_SGPR: 6
; COMPUTE_PGM_RSRC2:TRAP_HANDLER: 0
; COMPUTE_PGM_RSRC2:TGID_X_EN: 1
; COMPUTE_PGM_RSRC2:TGID_Y_EN: 0
; COMPUTE_PGM_RSRC2:TGID_Z_EN: 0
; COMPUTE_PGM_RSRC2:TIDIG_COMP_CNT: 0
	.section	.text._ZN2at6native29vectorized_elementwise_kernelILi16EZZZNS0_12_GLOBAL__N_124renorm_scale_factor_implERNS_18TensorIteratorBaseEdENKUlvE_clEvENKUlvE0_clEvEUlfE_St5arrayIPcLm2EEEEviT0_T1_,"axG",@progbits,_ZN2at6native29vectorized_elementwise_kernelILi16EZZZNS0_12_GLOBAL__N_124renorm_scale_factor_implERNS_18TensorIteratorBaseEdENKUlvE_clEvENKUlvE0_clEvEUlfE_St5arrayIPcLm2EEEEviT0_T1_,comdat
	.globl	_ZN2at6native29vectorized_elementwise_kernelILi16EZZZNS0_12_GLOBAL__N_124renorm_scale_factor_implERNS_18TensorIteratorBaseEdENKUlvE_clEvENKUlvE0_clEvEUlfE_St5arrayIPcLm2EEEEviT0_T1_ ; -- Begin function _ZN2at6native29vectorized_elementwise_kernelILi16EZZZNS0_12_GLOBAL__N_124renorm_scale_factor_implERNS_18TensorIteratorBaseEdENKUlvE_clEvENKUlvE0_clEvEUlfE_St5arrayIPcLm2EEEEviT0_T1_
	.p2align	8
	.type	_ZN2at6native29vectorized_elementwise_kernelILi16EZZZNS0_12_GLOBAL__N_124renorm_scale_factor_implERNS_18TensorIteratorBaseEdENKUlvE_clEvENKUlvE0_clEvEUlfE_St5arrayIPcLm2EEEEviT0_T1_,@function
_ZN2at6native29vectorized_elementwise_kernelILi16EZZZNS0_12_GLOBAL__N_124renorm_scale_factor_implERNS_18TensorIteratorBaseEdENKUlvE_clEvENKUlvE0_clEvEUlfE_St5arrayIPcLm2EEEEviT0_T1_: ; @_ZN2at6native29vectorized_elementwise_kernelILi16EZZZNS0_12_GLOBAL__N_124renorm_scale_factor_implERNS_18TensorIteratorBaseEdENKUlvE_clEvENKUlvE0_clEvEUlfE_St5arrayIPcLm2EEEEviT0_T1_
; %bb.0:
	s_load_dwordx2 s[12:13], s[4:5], 0x0
	s_load_dwordx4 s[8:11], s[4:5], 0x8
	s_lshl_b32 s2, s6, 10
	s_mov_b64 s[0:1], -1
	s_waitcnt lgkmcnt(0)
	s_sub_i32 s12, s12, s2
	s_cmpk_gt_i32 s12, 0x3ff
	s_cbranch_scc0 .LBB8_10
; %bb.1:
	s_ashr_i32 s3, s2, 31
	s_lshl_b64 s[0:1], s[2:3], 2
	s_add_u32 s4, s10, s0
	s_addc_u32 s5, s11, s1
	v_lshlrev_b32_e32 v7, 4, v0
	global_load_dwordx4 v[3:6], v7, s[4:5]
	v_mov_b32_e32 v2, 1.0
	v_mov_b32_e32 v1, 1.0
	s_waitcnt vmcnt(0)
	v_cmp_lt_f32_e32 vcc, s13, v3
	s_and_saveexec_b64 s[4:5], vcc
	s_cbranch_execz .LBB8_3
; %bb.2:
	v_add_f32_e32 v1, 0x33d6bf95, v3
	v_div_scale_f32 v3, s[6:7], v1, v1, s13
	v_div_scale_f32 v8, vcc, s13, v1, s13
	v_rcp_f32_e32 v9, v3
	v_fma_f32 v10, -v3, v9, 1.0
	v_fmac_f32_e32 v9, v10, v9
	v_mul_f32_e32 v10, v8, v9
	v_fma_f32 v11, -v3, v10, v8
	v_fmac_f32_e32 v10, v11, v9
	v_fma_f32 v3, -v3, v10, v8
	v_div_fmas_f32 v3, v3, v9, v10
	v_div_fixup_f32 v1, v3, v1, s13
.LBB8_3:
	s_or_b64 exec, exec, s[4:5]
	v_cmp_lt_f32_e32 vcc, s13, v4
	s_and_saveexec_b64 s[4:5], vcc
	s_cbranch_execz .LBB8_5
; %bb.4:
	v_add_f32_e32 v2, 0x33d6bf95, v4
	v_div_scale_f32 v3, s[6:7], v2, v2, s13
	v_div_scale_f32 v4, vcc, s13, v2, s13
	v_rcp_f32_e32 v8, v3
	v_fma_f32 v9, -v3, v8, 1.0
	v_fmac_f32_e32 v8, v9, v8
	v_mul_f32_e32 v9, v4, v8
	v_fma_f32 v10, -v3, v9, v4
	v_fmac_f32_e32 v9, v10, v8
	v_fma_f32 v3, -v3, v9, v4
	v_div_fmas_f32 v3, v3, v8, v9
	v_div_fixup_f32 v2, v3, v2, s13
.LBB8_5:
	s_or_b64 exec, exec, s[4:5]
	v_cmp_lt_f32_e32 vcc, s13, v5
	v_mov_b32_e32 v4, 1.0
	v_mov_b32_e32 v3, 1.0
	s_and_saveexec_b64 s[4:5], vcc
	s_cbranch_execz .LBB8_7
; %bb.6:
	v_add_f32_e32 v3, 0x33d6bf95, v5
	v_div_scale_f32 v5, s[6:7], v3, v3, s13
	v_div_scale_f32 v8, vcc, s13, v3, s13
	v_rcp_f32_e32 v9, v5
	v_fma_f32 v10, -v5, v9, 1.0
	v_fmac_f32_e32 v9, v10, v9
	v_mul_f32_e32 v10, v8, v9
	v_fma_f32 v11, -v5, v10, v8
	v_fmac_f32_e32 v10, v11, v9
	v_fma_f32 v5, -v5, v10, v8
	v_div_fmas_f32 v5, v5, v9, v10
	v_div_fixup_f32 v3, v5, v3, s13
.LBB8_7:
	s_or_b64 exec, exec, s[4:5]
	v_cmp_lt_f32_e32 vcc, s13, v6
	s_and_saveexec_b64 s[4:5], vcc
	s_cbranch_execz .LBB8_9
; %bb.8:
	v_add_f32_e32 v4, 0x33d6bf95, v6
	v_div_scale_f32 v5, s[6:7], v4, v4, s13
	v_div_scale_f32 v6, vcc, s13, v4, s13
	v_rcp_f32_e32 v8, v5
	v_fma_f32 v9, -v5, v8, 1.0
	v_fmac_f32_e32 v8, v9, v8
	v_mul_f32_e32 v9, v6, v8
	v_fma_f32 v10, -v5, v9, v6
	v_fmac_f32_e32 v9, v10, v8
	v_fma_f32 v5, -v5, v9, v6
	v_div_fmas_f32 v5, v5, v8, v9
	v_div_fixup_f32 v4, v5, v4, s13
.LBB8_9:
	s_or_b64 exec, exec, s[4:5]
	s_add_u32 s0, s8, s0
	s_addc_u32 s1, s9, s1
	global_store_dwordx4 v7, v[1:4], s[0:1]
	s_mov_b64 s[0:1], 0
.LBB8_10:
	s_and_b64 vcc, exec, s[0:1]
	s_cbranch_vccz .LBB8_37
; %bb.11:
	v_cmp_gt_i32_e64 s[0:1], s12, v0
	v_mov_b32_e32 v7, 0
	v_or_b32_e32 v1, s2, v0
	v_mov_b32_e32 v8, 0
	v_mov_b32_e32 v3, v0
	s_and_saveexec_b64 s[4:5], s[0:1]
	s_cbranch_execz .LBB8_13
; %bb.12:
	v_mov_b32_e32 v2, 0
	v_lshlrev_b64 v[2:3], 2, v[1:2]
	v_mov_b32_e32 v4, s11
	v_add_co_u32_e32 v2, vcc, s10, v2
	v_addc_co_u32_e32 v3, vcc, v4, v3, vcc
	global_load_dword v8, v[2:3], off
	v_or_b32_e32 v3, 0x100, v0
.LBB8_13:
	s_or_b64 exec, exec, s[4:5]
	v_cmp_gt_i32_e32 vcc, s12, v3
	s_and_saveexec_b64 s[4:5], vcc
	s_cbranch_execz .LBB8_15
; %bb.14:
	v_add_u32_e32 v4, s2, v3
	v_mov_b32_e32 v5, 0
	v_lshlrev_b64 v[4:5], 2, v[4:5]
	v_mov_b32_e32 v2, s11
	v_add_co_u32_e32 v4, vcc, s10, v4
	v_addc_co_u32_e32 v5, vcc, v2, v5, vcc
	global_load_dword v7, v[4:5], off
	v_add_u32_e32 v3, 0x100, v3
.LBB8_15:
	s_or_b64 exec, exec, s[4:5]
	v_cmp_gt_i32_e32 vcc, s12, v3
	v_mov_b32_e32 v2, 0
	v_mov_b32_e32 v9, 0
	s_and_saveexec_b64 s[4:5], vcc
	s_cbranch_execz .LBB8_17
; %bb.16:
	v_add_u32_e32 v4, s2, v3
	v_mov_b32_e32 v5, 0
	v_lshlrev_b64 v[4:5], 2, v[4:5]
	v_mov_b32_e32 v6, s11
	v_add_co_u32_e32 v4, vcc, s10, v4
	v_addc_co_u32_e32 v5, vcc, v6, v5, vcc
	global_load_dword v9, v[4:5], off
	v_add_u32_e32 v3, 0x100, v3
.LBB8_17:
	s_or_b64 exec, exec, s[4:5]
	v_cmp_gt_i32_e32 vcc, s12, v3
	s_and_saveexec_b64 s[4:5], vcc
	s_cbranch_execz .LBB8_19
; %bb.18:
	v_add_u32_e32 v2, s2, v3
	v_mov_b32_e32 v3, 0
	v_lshlrev_b64 v[2:3], 2, v[2:3]
	v_mov_b32_e32 v4, s11
	v_add_co_u32_e32 v2, vcc, s10, v2
	v_addc_co_u32_e32 v3, vcc, v4, v3, vcc
	global_load_dword v2, v[2:3], off
.LBB8_19:
	s_or_b64 exec, exec, s[4:5]
	v_mov_b32_e32 v5, 0
	v_mov_b32_e32 v6, v5
	;; [unrolled: 1-line block ×4, first 2 shown]
	s_and_saveexec_b64 s[4:5], s[0:1]
	s_cbranch_execz .LBB8_23
; %bb.20:
	s_waitcnt vmcnt(0)
	v_cmp_lt_f32_e32 vcc, s13, v8
	v_mov_b32_e32 v5, 1.0
	s_and_saveexec_b64 s[6:7], vcc
	s_cbranch_execz .LBB8_22
; %bb.21:
	v_add_f32_e32 v3, 0x33d6bf95, v8
	v_div_scale_f32 v4, s[10:11], v3, v3, s13
	v_div_scale_f32 v5, vcc, s13, v3, s13
	v_rcp_f32_e32 v6, v4
	v_fma_f32 v8, -v4, v6, 1.0
	v_fmac_f32_e32 v6, v8, v6
	v_mul_f32_e32 v8, v5, v6
	v_fma_f32 v10, -v4, v8, v5
	v_fmac_f32_e32 v8, v10, v6
	v_fma_f32 v4, -v4, v8, v5
	v_div_fmas_f32 v4, v4, v6, v8
	v_div_fixup_f32 v5, v4, v3, s13
.LBB8_22:
	s_or_b64 exec, exec, s[6:7]
	v_mov_b32_e32 v6, 0
	v_mov_b32_e32 v4, v6
	;; [unrolled: 1-line block ×3, first 2 shown]
.LBB8_23:
	s_or_b64 exec, exec, s[4:5]
	s_waitcnt vmcnt(0)
	v_or_b32_e32 v8, 0x100, v0
	v_cmp_gt_i32_e32 vcc, s12, v8
	s_and_saveexec_b64 s[4:5], vcc
	s_cbranch_execz .LBB8_27
; %bb.24:
	v_cmp_lt_f32_e32 vcc, s13, v7
	v_mov_b32_e32 v6, 1.0
	s_and_saveexec_b64 s[6:7], vcc
	s_cbranch_execz .LBB8_26
; %bb.25:
	v_add_f32_e32 v6, 0x33d6bf95, v7
	v_div_scale_f32 v7, s[10:11], v6, v6, s13
	v_div_scale_f32 v10, vcc, s13, v6, s13
	v_rcp_f32_e32 v11, v7
	v_fma_f32 v12, -v7, v11, 1.0
	v_fmac_f32_e32 v11, v12, v11
	v_mul_f32_e32 v12, v10, v11
	v_fma_f32 v13, -v7, v12, v10
	v_fmac_f32_e32 v12, v13, v11
	v_fma_f32 v7, -v7, v12, v10
	v_div_fmas_f32 v7, v7, v11, v12
	v_div_fixup_f32 v6, v7, v6, s13
.LBB8_26:
	s_or_b64 exec, exec, s[6:7]
.LBB8_27:
	s_or_b64 exec, exec, s[4:5]
	v_or_b32_e32 v7, 0x200, v0
	v_cmp_gt_i32_e32 vcc, s12, v7
	s_and_saveexec_b64 s[4:5], vcc
	s_cbranch_execz .LBB8_31
; %bb.28:
	v_cmp_lt_f32_e32 vcc, s13, v9
	v_mov_b32_e32 v4, 1.0
	s_and_saveexec_b64 s[6:7], vcc
	s_cbranch_execz .LBB8_30
; %bb.29:
	v_add_f32_e32 v4, 0x33d6bf95, v9
	v_div_scale_f32 v7, s[10:11], v4, v4, s13
	v_div_scale_f32 v9, vcc, s13, v4, s13
	v_rcp_f32_e32 v10, v7
	v_fma_f32 v11, -v7, v10, 1.0
	v_fmac_f32_e32 v10, v11, v10
	v_mul_f32_e32 v11, v9, v10
	v_fma_f32 v12, -v7, v11, v9
	v_fmac_f32_e32 v11, v12, v10
	v_fma_f32 v7, -v7, v11, v9
	v_div_fmas_f32 v7, v7, v10, v11
	v_div_fixup_f32 v4, v7, v4, s13
.LBB8_30:
	s_or_b64 exec, exec, s[6:7]
.LBB8_31:
	s_or_b64 exec, exec, s[4:5]
	v_or_b32_e32 v7, 0x300, v0
	v_cmp_gt_i32_e32 vcc, s12, v7
	s_and_saveexec_b64 s[4:5], vcc
	s_cbranch_execnz .LBB8_38
; %bb.32:
	s_or_b64 exec, exec, s[4:5]
	s_and_saveexec_b64 s[4:5], s[0:1]
	s_xor_b64 s[0:1], exec, s[4:5]
	s_cbranch_execnz .LBB8_41
.LBB8_33:
	s_or_b64 exec, exec, s[0:1]
	v_cmp_gt_i32_e32 vcc, s12, v0
	s_and_saveexec_b64 s[0:1], vcc
	s_cbranch_execnz .LBB8_42
.LBB8_34:
	s_or_b64 exec, exec, s[0:1]
	v_cmp_gt_i32_e32 vcc, s12, v0
	s_and_saveexec_b64 s[0:1], vcc
	s_cbranch_execnz .LBB8_43
.LBB8_35:
	s_or_b64 exec, exec, s[0:1]
	v_cmp_gt_i32_e32 vcc, s12, v0
	s_and_saveexec_b64 s[0:1], vcc
	s_cbranch_execz .LBB8_37
.LBB8_36:
	v_add_u32_e32 v0, s2, v0
	v_mov_b32_e32 v1, 0
	v_lshlrev_b64 v[0:1], 2, v[0:1]
	v_mov_b32_e32 v2, s9
	v_add_co_u32_e32 v0, vcc, s8, v0
	v_addc_co_u32_e32 v1, vcc, v2, v1, vcc
	global_store_dword v[0:1], v3, off
.LBB8_37:
	s_endpgm
.LBB8_38:
	v_cmp_lt_f32_e32 vcc, s13, v2
	v_mov_b32_e32 v3, 1.0
	s_and_saveexec_b64 s[6:7], vcc
	s_cbranch_execz .LBB8_40
; %bb.39:
	v_add_f32_e32 v2, 0x33d6bf95, v2
	v_div_scale_f32 v3, s[10:11], v2, v2, s13
	v_div_scale_f32 v7, vcc, s13, v2, s13
	v_rcp_f32_e32 v9, v3
	v_fma_f32 v10, -v3, v9, 1.0
	v_fmac_f32_e32 v9, v10, v9
	v_mul_f32_e32 v10, v7, v9
	v_fma_f32 v11, -v3, v10, v7
	v_fmac_f32_e32 v10, v11, v9
	v_fma_f32 v3, -v3, v10, v7
	v_div_fmas_f32 v3, v3, v9, v10
	v_div_fixup_f32 v3, v3, v2, s13
.LBB8_40:
	s_or_b64 exec, exec, s[6:7]
	s_or_b64 exec, exec, s[4:5]
	s_and_saveexec_b64 s[4:5], s[0:1]
	s_xor_b64 s[0:1], exec, s[4:5]
	s_cbranch_execz .LBB8_33
.LBB8_41:
	v_mov_b32_e32 v2, 0
	v_lshlrev_b64 v[0:1], 2, v[1:2]
	v_mov_b32_e32 v2, s9
	v_add_co_u32_e32 v0, vcc, s8, v0
	v_addc_co_u32_e32 v1, vcc, v2, v1, vcc
	global_store_dword v[0:1], v5, off
	v_mov_b32_e32 v0, v8
	s_or_b64 exec, exec, s[0:1]
	v_cmp_gt_i32_e32 vcc, s12, v0
	s_and_saveexec_b64 s[0:1], vcc
	s_cbranch_execz .LBB8_34
.LBB8_42:
	v_add_u32_e32 v1, s2, v0
	v_mov_b32_e32 v2, 0
	v_lshlrev_b64 v[1:2], 2, v[1:2]
	v_mov_b32_e32 v5, s9
	v_add_co_u32_e32 v1, vcc, s8, v1
	v_addc_co_u32_e32 v2, vcc, v5, v2, vcc
	v_add_u32_e32 v0, 0x100, v0
	global_store_dword v[1:2], v6, off
	s_or_b64 exec, exec, s[0:1]
	v_cmp_gt_i32_e32 vcc, s12, v0
	s_and_saveexec_b64 s[0:1], vcc
	s_cbranch_execz .LBB8_35
.LBB8_43:
	v_add_u32_e32 v1, s2, v0
	v_mov_b32_e32 v2, 0
	v_lshlrev_b64 v[1:2], 2, v[1:2]
	v_mov_b32_e32 v5, s9
	v_add_co_u32_e32 v1, vcc, s8, v1
	v_addc_co_u32_e32 v2, vcc, v5, v2, vcc
	v_add_u32_e32 v0, 0x100, v0
	global_store_dword v[1:2], v4, off
	s_or_b64 exec, exec, s[0:1]
	v_cmp_gt_i32_e32 vcc, s12, v0
	s_and_saveexec_b64 s[0:1], vcc
	s_cbranch_execnz .LBB8_36
	s_branch .LBB8_37
	.section	.rodata,"a",@progbits
	.p2align	6, 0x0
	.amdhsa_kernel _ZN2at6native29vectorized_elementwise_kernelILi16EZZZNS0_12_GLOBAL__N_124renorm_scale_factor_implERNS_18TensorIteratorBaseEdENKUlvE_clEvENKUlvE0_clEvEUlfE_St5arrayIPcLm2EEEEviT0_T1_
		.amdhsa_group_segment_fixed_size 0
		.amdhsa_private_segment_fixed_size 0
		.amdhsa_kernarg_size 24
		.amdhsa_user_sgpr_count 6
		.amdhsa_user_sgpr_private_segment_buffer 1
		.amdhsa_user_sgpr_dispatch_ptr 0
		.amdhsa_user_sgpr_queue_ptr 0
		.amdhsa_user_sgpr_kernarg_segment_ptr 1
		.amdhsa_user_sgpr_dispatch_id 0
		.amdhsa_user_sgpr_flat_scratch_init 0
		.amdhsa_user_sgpr_private_segment_size 0
		.amdhsa_uses_dynamic_stack 0
		.amdhsa_system_sgpr_private_segment_wavefront_offset 0
		.amdhsa_system_sgpr_workgroup_id_x 1
		.amdhsa_system_sgpr_workgroup_id_y 0
		.amdhsa_system_sgpr_workgroup_id_z 0
		.amdhsa_system_sgpr_workgroup_info 0
		.amdhsa_system_vgpr_workitem_id 0
		.amdhsa_next_free_vgpr 14
		.amdhsa_next_free_sgpr 14
		.amdhsa_reserve_vcc 1
		.amdhsa_reserve_flat_scratch 0
		.amdhsa_float_round_mode_32 0
		.amdhsa_float_round_mode_16_64 0
		.amdhsa_float_denorm_mode_32 3
		.amdhsa_float_denorm_mode_16_64 3
		.amdhsa_dx10_clamp 1
		.amdhsa_ieee_mode 1
		.amdhsa_fp16_overflow 0
		.amdhsa_exception_fp_ieee_invalid_op 0
		.amdhsa_exception_fp_denorm_src 0
		.amdhsa_exception_fp_ieee_div_zero 0
		.amdhsa_exception_fp_ieee_overflow 0
		.amdhsa_exception_fp_ieee_underflow 0
		.amdhsa_exception_fp_ieee_inexact 0
		.amdhsa_exception_int_div_zero 0
	.end_amdhsa_kernel
	.section	.text._ZN2at6native29vectorized_elementwise_kernelILi16EZZZNS0_12_GLOBAL__N_124renorm_scale_factor_implERNS_18TensorIteratorBaseEdENKUlvE_clEvENKUlvE0_clEvEUlfE_St5arrayIPcLm2EEEEviT0_T1_,"axG",@progbits,_ZN2at6native29vectorized_elementwise_kernelILi16EZZZNS0_12_GLOBAL__N_124renorm_scale_factor_implERNS_18TensorIteratorBaseEdENKUlvE_clEvENKUlvE0_clEvEUlfE_St5arrayIPcLm2EEEEviT0_T1_,comdat
.Lfunc_end8:
	.size	_ZN2at6native29vectorized_elementwise_kernelILi16EZZZNS0_12_GLOBAL__N_124renorm_scale_factor_implERNS_18TensorIteratorBaseEdENKUlvE_clEvENKUlvE0_clEvEUlfE_St5arrayIPcLm2EEEEviT0_T1_, .Lfunc_end8-_ZN2at6native29vectorized_elementwise_kernelILi16EZZZNS0_12_GLOBAL__N_124renorm_scale_factor_implERNS_18TensorIteratorBaseEdENKUlvE_clEvENKUlvE0_clEvEUlfE_St5arrayIPcLm2EEEEviT0_T1_
                                        ; -- End function
	.set _ZN2at6native29vectorized_elementwise_kernelILi16EZZZNS0_12_GLOBAL__N_124renorm_scale_factor_implERNS_18TensorIteratorBaseEdENKUlvE_clEvENKUlvE0_clEvEUlfE_St5arrayIPcLm2EEEEviT0_T1_.num_vgpr, 14
	.set _ZN2at6native29vectorized_elementwise_kernelILi16EZZZNS0_12_GLOBAL__N_124renorm_scale_factor_implERNS_18TensorIteratorBaseEdENKUlvE_clEvENKUlvE0_clEvEUlfE_St5arrayIPcLm2EEEEviT0_T1_.num_agpr, 0
	.set _ZN2at6native29vectorized_elementwise_kernelILi16EZZZNS0_12_GLOBAL__N_124renorm_scale_factor_implERNS_18TensorIteratorBaseEdENKUlvE_clEvENKUlvE0_clEvEUlfE_St5arrayIPcLm2EEEEviT0_T1_.numbered_sgpr, 14
	.set _ZN2at6native29vectorized_elementwise_kernelILi16EZZZNS0_12_GLOBAL__N_124renorm_scale_factor_implERNS_18TensorIteratorBaseEdENKUlvE_clEvENKUlvE0_clEvEUlfE_St5arrayIPcLm2EEEEviT0_T1_.num_named_barrier, 0
	.set _ZN2at6native29vectorized_elementwise_kernelILi16EZZZNS0_12_GLOBAL__N_124renorm_scale_factor_implERNS_18TensorIteratorBaseEdENKUlvE_clEvENKUlvE0_clEvEUlfE_St5arrayIPcLm2EEEEviT0_T1_.private_seg_size, 0
	.set _ZN2at6native29vectorized_elementwise_kernelILi16EZZZNS0_12_GLOBAL__N_124renorm_scale_factor_implERNS_18TensorIteratorBaseEdENKUlvE_clEvENKUlvE0_clEvEUlfE_St5arrayIPcLm2EEEEviT0_T1_.uses_vcc, 1
	.set _ZN2at6native29vectorized_elementwise_kernelILi16EZZZNS0_12_GLOBAL__N_124renorm_scale_factor_implERNS_18TensorIteratorBaseEdENKUlvE_clEvENKUlvE0_clEvEUlfE_St5arrayIPcLm2EEEEviT0_T1_.uses_flat_scratch, 0
	.set _ZN2at6native29vectorized_elementwise_kernelILi16EZZZNS0_12_GLOBAL__N_124renorm_scale_factor_implERNS_18TensorIteratorBaseEdENKUlvE_clEvENKUlvE0_clEvEUlfE_St5arrayIPcLm2EEEEviT0_T1_.has_dyn_sized_stack, 0
	.set _ZN2at6native29vectorized_elementwise_kernelILi16EZZZNS0_12_GLOBAL__N_124renorm_scale_factor_implERNS_18TensorIteratorBaseEdENKUlvE_clEvENKUlvE0_clEvEUlfE_St5arrayIPcLm2EEEEviT0_T1_.has_recursion, 0
	.set _ZN2at6native29vectorized_elementwise_kernelILi16EZZZNS0_12_GLOBAL__N_124renorm_scale_factor_implERNS_18TensorIteratorBaseEdENKUlvE_clEvENKUlvE0_clEvEUlfE_St5arrayIPcLm2EEEEviT0_T1_.has_indirect_call, 0
	.section	.AMDGPU.csdata,"",@progbits
; Kernel info:
; codeLenInByte = 1568
; TotalNumSgprs: 18
; NumVgprs: 14
; ScratchSize: 0
; MemoryBound: 0
; FloatMode: 240
; IeeeMode: 1
; LDSByteSize: 0 bytes/workgroup (compile time only)
; SGPRBlocks: 2
; VGPRBlocks: 3
; NumSGPRsForWavesPerEU: 18
; NumVGPRsForWavesPerEU: 14
; Occupancy: 10
; WaveLimiterHint : 0
; COMPUTE_PGM_RSRC2:SCRATCH_EN: 0
; COMPUTE_PGM_RSRC2:USER_SGPR: 6
; COMPUTE_PGM_RSRC2:TRAP_HANDLER: 0
; COMPUTE_PGM_RSRC2:TGID_X_EN: 1
; COMPUTE_PGM_RSRC2:TGID_Y_EN: 0
; COMPUTE_PGM_RSRC2:TGID_Z_EN: 0
; COMPUTE_PGM_RSRC2:TIDIG_COMP_CNT: 0
	.section	.text._ZN2at6native29vectorized_elementwise_kernelILi8EZZZNS0_12_GLOBAL__N_124renorm_scale_factor_implERNS_18TensorIteratorBaseEdENKUlvE_clEvENKUlvE0_clEvEUlfE_St5arrayIPcLm2EEEEviT0_T1_,"axG",@progbits,_ZN2at6native29vectorized_elementwise_kernelILi8EZZZNS0_12_GLOBAL__N_124renorm_scale_factor_implERNS_18TensorIteratorBaseEdENKUlvE_clEvENKUlvE0_clEvEUlfE_St5arrayIPcLm2EEEEviT0_T1_,comdat
	.globl	_ZN2at6native29vectorized_elementwise_kernelILi8EZZZNS0_12_GLOBAL__N_124renorm_scale_factor_implERNS_18TensorIteratorBaseEdENKUlvE_clEvENKUlvE0_clEvEUlfE_St5arrayIPcLm2EEEEviT0_T1_ ; -- Begin function _ZN2at6native29vectorized_elementwise_kernelILi8EZZZNS0_12_GLOBAL__N_124renorm_scale_factor_implERNS_18TensorIteratorBaseEdENKUlvE_clEvENKUlvE0_clEvEUlfE_St5arrayIPcLm2EEEEviT0_T1_
	.p2align	8
	.type	_ZN2at6native29vectorized_elementwise_kernelILi8EZZZNS0_12_GLOBAL__N_124renorm_scale_factor_implERNS_18TensorIteratorBaseEdENKUlvE_clEvENKUlvE0_clEvEUlfE_St5arrayIPcLm2EEEEviT0_T1_,@function
_ZN2at6native29vectorized_elementwise_kernelILi8EZZZNS0_12_GLOBAL__N_124renorm_scale_factor_implERNS_18TensorIteratorBaseEdENKUlvE_clEvENKUlvE0_clEvEUlfE_St5arrayIPcLm2EEEEviT0_T1_: ; @_ZN2at6native29vectorized_elementwise_kernelILi8EZZZNS0_12_GLOBAL__N_124renorm_scale_factor_implERNS_18TensorIteratorBaseEdENKUlvE_clEvENKUlvE0_clEvEUlfE_St5arrayIPcLm2EEEEviT0_T1_
; %bb.0:
	s_load_dwordx2 s[12:13], s[4:5], 0x0
	s_load_dwordx4 s[8:11], s[4:5], 0x8
	s_lshl_b32 s2, s6, 10
	s_mov_b64 s[0:1], -1
	s_waitcnt lgkmcnt(0)
	s_sub_i32 s12, s12, s2
	s_cmpk_gt_i32 s12, 0x3ff
	s_cbranch_scc0 .LBB9_10
; %bb.1:
	s_ashr_i32 s3, s2, 31
	s_lshl_b64 s[0:1], s[2:3], 2
	s_add_u32 s4, s10, s0
	s_addc_u32 s5, s11, s1
	v_lshlrev_b32_e32 v7, 4, v0
	global_load_dwordx4 v[3:6], v7, s[4:5]
	v_mov_b32_e32 v2, 1.0
	v_mov_b32_e32 v1, 1.0
	s_waitcnt vmcnt(0)
	v_cmp_lt_f32_e32 vcc, s13, v3
	s_and_saveexec_b64 s[4:5], vcc
	s_cbranch_execz .LBB9_3
; %bb.2:
	v_add_f32_e32 v1, 0x33d6bf95, v3
	v_div_scale_f32 v3, s[6:7], v1, v1, s13
	v_div_scale_f32 v8, vcc, s13, v1, s13
	v_rcp_f32_e32 v9, v3
	v_fma_f32 v10, -v3, v9, 1.0
	v_fmac_f32_e32 v9, v10, v9
	v_mul_f32_e32 v10, v8, v9
	v_fma_f32 v11, -v3, v10, v8
	v_fmac_f32_e32 v10, v11, v9
	v_fma_f32 v3, -v3, v10, v8
	v_div_fmas_f32 v3, v3, v9, v10
	v_div_fixup_f32 v1, v3, v1, s13
.LBB9_3:
	s_or_b64 exec, exec, s[4:5]
	v_cmp_lt_f32_e32 vcc, s13, v4
	s_and_saveexec_b64 s[4:5], vcc
	s_cbranch_execz .LBB9_5
; %bb.4:
	v_add_f32_e32 v2, 0x33d6bf95, v4
	v_div_scale_f32 v3, s[6:7], v2, v2, s13
	v_div_scale_f32 v4, vcc, s13, v2, s13
	v_rcp_f32_e32 v8, v3
	v_fma_f32 v9, -v3, v8, 1.0
	v_fmac_f32_e32 v8, v9, v8
	v_mul_f32_e32 v9, v4, v8
	v_fma_f32 v10, -v3, v9, v4
	v_fmac_f32_e32 v9, v10, v8
	v_fma_f32 v3, -v3, v9, v4
	v_div_fmas_f32 v3, v3, v8, v9
	v_div_fixup_f32 v2, v3, v2, s13
.LBB9_5:
	s_or_b64 exec, exec, s[4:5]
	v_cmp_lt_f32_e32 vcc, s13, v5
	v_mov_b32_e32 v4, 1.0
	v_mov_b32_e32 v3, 1.0
	s_and_saveexec_b64 s[4:5], vcc
	s_cbranch_execz .LBB9_7
; %bb.6:
	v_add_f32_e32 v3, 0x33d6bf95, v5
	v_div_scale_f32 v5, s[6:7], v3, v3, s13
	v_div_scale_f32 v8, vcc, s13, v3, s13
	v_rcp_f32_e32 v9, v5
	v_fma_f32 v10, -v5, v9, 1.0
	v_fmac_f32_e32 v9, v10, v9
	v_mul_f32_e32 v10, v8, v9
	v_fma_f32 v11, -v5, v10, v8
	v_fmac_f32_e32 v10, v11, v9
	v_fma_f32 v5, -v5, v10, v8
	v_div_fmas_f32 v5, v5, v9, v10
	v_div_fixup_f32 v3, v5, v3, s13
.LBB9_7:
	s_or_b64 exec, exec, s[4:5]
	v_cmp_lt_f32_e32 vcc, s13, v6
	s_and_saveexec_b64 s[4:5], vcc
	s_cbranch_execz .LBB9_9
; %bb.8:
	v_add_f32_e32 v4, 0x33d6bf95, v6
	v_div_scale_f32 v5, s[6:7], v4, v4, s13
	v_div_scale_f32 v6, vcc, s13, v4, s13
	v_rcp_f32_e32 v8, v5
	v_fma_f32 v9, -v5, v8, 1.0
	v_fmac_f32_e32 v8, v9, v8
	v_mul_f32_e32 v9, v6, v8
	v_fma_f32 v10, -v5, v9, v6
	v_fmac_f32_e32 v9, v10, v8
	v_fma_f32 v5, -v5, v9, v6
	v_div_fmas_f32 v5, v5, v8, v9
	v_div_fixup_f32 v4, v5, v4, s13
.LBB9_9:
	s_or_b64 exec, exec, s[4:5]
	s_add_u32 s0, s8, s0
	s_addc_u32 s1, s9, s1
	global_store_dwordx4 v7, v[1:4], s[0:1]
	s_mov_b64 s[0:1], 0
.LBB9_10:
	s_and_b64 vcc, exec, s[0:1]
	s_cbranch_vccz .LBB9_37
; %bb.11:
	v_cmp_gt_i32_e64 s[0:1], s12, v0
	v_mov_b32_e32 v7, 0
	v_or_b32_e32 v1, s2, v0
	v_mov_b32_e32 v8, 0
	v_mov_b32_e32 v3, v0
	s_and_saveexec_b64 s[4:5], s[0:1]
	s_cbranch_execz .LBB9_13
; %bb.12:
	v_mov_b32_e32 v2, 0
	v_lshlrev_b64 v[2:3], 2, v[1:2]
	v_mov_b32_e32 v4, s11
	v_add_co_u32_e32 v2, vcc, s10, v2
	v_addc_co_u32_e32 v3, vcc, v4, v3, vcc
	global_load_dword v8, v[2:3], off
	v_or_b32_e32 v3, 0x100, v0
.LBB9_13:
	s_or_b64 exec, exec, s[4:5]
	v_cmp_gt_i32_e32 vcc, s12, v3
	s_and_saveexec_b64 s[4:5], vcc
	s_cbranch_execz .LBB9_15
; %bb.14:
	v_add_u32_e32 v4, s2, v3
	v_mov_b32_e32 v5, 0
	v_lshlrev_b64 v[4:5], 2, v[4:5]
	v_mov_b32_e32 v2, s11
	v_add_co_u32_e32 v4, vcc, s10, v4
	v_addc_co_u32_e32 v5, vcc, v2, v5, vcc
	global_load_dword v7, v[4:5], off
	v_add_u32_e32 v3, 0x100, v3
.LBB9_15:
	s_or_b64 exec, exec, s[4:5]
	v_cmp_gt_i32_e32 vcc, s12, v3
	v_mov_b32_e32 v2, 0
	v_mov_b32_e32 v9, 0
	s_and_saveexec_b64 s[4:5], vcc
	s_cbranch_execz .LBB9_17
; %bb.16:
	v_add_u32_e32 v4, s2, v3
	v_mov_b32_e32 v5, 0
	v_lshlrev_b64 v[4:5], 2, v[4:5]
	v_mov_b32_e32 v6, s11
	v_add_co_u32_e32 v4, vcc, s10, v4
	v_addc_co_u32_e32 v5, vcc, v6, v5, vcc
	global_load_dword v9, v[4:5], off
	v_add_u32_e32 v3, 0x100, v3
.LBB9_17:
	s_or_b64 exec, exec, s[4:5]
	v_cmp_gt_i32_e32 vcc, s12, v3
	s_and_saveexec_b64 s[4:5], vcc
	s_cbranch_execz .LBB9_19
; %bb.18:
	v_add_u32_e32 v2, s2, v3
	v_mov_b32_e32 v3, 0
	v_lshlrev_b64 v[2:3], 2, v[2:3]
	v_mov_b32_e32 v4, s11
	v_add_co_u32_e32 v2, vcc, s10, v2
	v_addc_co_u32_e32 v3, vcc, v4, v3, vcc
	global_load_dword v2, v[2:3], off
.LBB9_19:
	s_or_b64 exec, exec, s[4:5]
	v_mov_b32_e32 v5, 0
	v_mov_b32_e32 v6, v5
	;; [unrolled: 1-line block ×4, first 2 shown]
	s_and_saveexec_b64 s[4:5], s[0:1]
	s_cbranch_execz .LBB9_23
; %bb.20:
	s_waitcnt vmcnt(0)
	v_cmp_lt_f32_e32 vcc, s13, v8
	v_mov_b32_e32 v5, 1.0
	s_and_saveexec_b64 s[6:7], vcc
	s_cbranch_execz .LBB9_22
; %bb.21:
	v_add_f32_e32 v3, 0x33d6bf95, v8
	v_div_scale_f32 v4, s[10:11], v3, v3, s13
	v_div_scale_f32 v5, vcc, s13, v3, s13
	v_rcp_f32_e32 v6, v4
	v_fma_f32 v8, -v4, v6, 1.0
	v_fmac_f32_e32 v6, v8, v6
	v_mul_f32_e32 v8, v5, v6
	v_fma_f32 v10, -v4, v8, v5
	v_fmac_f32_e32 v8, v10, v6
	v_fma_f32 v4, -v4, v8, v5
	v_div_fmas_f32 v4, v4, v6, v8
	v_div_fixup_f32 v5, v4, v3, s13
.LBB9_22:
	s_or_b64 exec, exec, s[6:7]
	v_mov_b32_e32 v6, 0
	v_mov_b32_e32 v4, v6
	;; [unrolled: 1-line block ×3, first 2 shown]
.LBB9_23:
	s_or_b64 exec, exec, s[4:5]
	s_waitcnt vmcnt(0)
	v_or_b32_e32 v8, 0x100, v0
	v_cmp_gt_i32_e32 vcc, s12, v8
	s_and_saveexec_b64 s[4:5], vcc
	s_cbranch_execz .LBB9_27
; %bb.24:
	v_cmp_lt_f32_e32 vcc, s13, v7
	v_mov_b32_e32 v6, 1.0
	s_and_saveexec_b64 s[6:7], vcc
	s_cbranch_execz .LBB9_26
; %bb.25:
	v_add_f32_e32 v6, 0x33d6bf95, v7
	v_div_scale_f32 v7, s[10:11], v6, v6, s13
	v_div_scale_f32 v10, vcc, s13, v6, s13
	v_rcp_f32_e32 v11, v7
	v_fma_f32 v12, -v7, v11, 1.0
	v_fmac_f32_e32 v11, v12, v11
	v_mul_f32_e32 v12, v10, v11
	v_fma_f32 v13, -v7, v12, v10
	v_fmac_f32_e32 v12, v13, v11
	v_fma_f32 v7, -v7, v12, v10
	v_div_fmas_f32 v7, v7, v11, v12
	v_div_fixup_f32 v6, v7, v6, s13
.LBB9_26:
	s_or_b64 exec, exec, s[6:7]
.LBB9_27:
	s_or_b64 exec, exec, s[4:5]
	v_or_b32_e32 v7, 0x200, v0
	v_cmp_gt_i32_e32 vcc, s12, v7
	s_and_saveexec_b64 s[4:5], vcc
	s_cbranch_execz .LBB9_31
; %bb.28:
	v_cmp_lt_f32_e32 vcc, s13, v9
	v_mov_b32_e32 v4, 1.0
	s_and_saveexec_b64 s[6:7], vcc
	s_cbranch_execz .LBB9_30
; %bb.29:
	v_add_f32_e32 v4, 0x33d6bf95, v9
	v_div_scale_f32 v7, s[10:11], v4, v4, s13
	v_div_scale_f32 v9, vcc, s13, v4, s13
	v_rcp_f32_e32 v10, v7
	v_fma_f32 v11, -v7, v10, 1.0
	v_fmac_f32_e32 v10, v11, v10
	v_mul_f32_e32 v11, v9, v10
	v_fma_f32 v12, -v7, v11, v9
	v_fmac_f32_e32 v11, v12, v10
	v_fma_f32 v7, -v7, v11, v9
	v_div_fmas_f32 v7, v7, v10, v11
	v_div_fixup_f32 v4, v7, v4, s13
.LBB9_30:
	s_or_b64 exec, exec, s[6:7]
.LBB9_31:
	s_or_b64 exec, exec, s[4:5]
	v_or_b32_e32 v7, 0x300, v0
	v_cmp_gt_i32_e32 vcc, s12, v7
	s_and_saveexec_b64 s[4:5], vcc
	s_cbranch_execnz .LBB9_38
; %bb.32:
	s_or_b64 exec, exec, s[4:5]
	s_and_saveexec_b64 s[4:5], s[0:1]
	s_xor_b64 s[0:1], exec, s[4:5]
	s_cbranch_execnz .LBB9_41
.LBB9_33:
	s_or_b64 exec, exec, s[0:1]
	v_cmp_gt_i32_e32 vcc, s12, v0
	s_and_saveexec_b64 s[0:1], vcc
	s_cbranch_execnz .LBB9_42
.LBB9_34:
	s_or_b64 exec, exec, s[0:1]
	v_cmp_gt_i32_e32 vcc, s12, v0
	s_and_saveexec_b64 s[0:1], vcc
	s_cbranch_execnz .LBB9_43
.LBB9_35:
	s_or_b64 exec, exec, s[0:1]
	v_cmp_gt_i32_e32 vcc, s12, v0
	s_and_saveexec_b64 s[0:1], vcc
	s_cbranch_execz .LBB9_37
.LBB9_36:
	v_add_u32_e32 v0, s2, v0
	v_mov_b32_e32 v1, 0
	v_lshlrev_b64 v[0:1], 2, v[0:1]
	v_mov_b32_e32 v2, s9
	v_add_co_u32_e32 v0, vcc, s8, v0
	v_addc_co_u32_e32 v1, vcc, v2, v1, vcc
	global_store_dword v[0:1], v3, off
.LBB9_37:
	s_endpgm
.LBB9_38:
	v_cmp_lt_f32_e32 vcc, s13, v2
	v_mov_b32_e32 v3, 1.0
	s_and_saveexec_b64 s[6:7], vcc
	s_cbranch_execz .LBB9_40
; %bb.39:
	v_add_f32_e32 v2, 0x33d6bf95, v2
	v_div_scale_f32 v3, s[10:11], v2, v2, s13
	v_div_scale_f32 v7, vcc, s13, v2, s13
	v_rcp_f32_e32 v9, v3
	v_fma_f32 v10, -v3, v9, 1.0
	v_fmac_f32_e32 v9, v10, v9
	v_mul_f32_e32 v10, v7, v9
	v_fma_f32 v11, -v3, v10, v7
	v_fmac_f32_e32 v10, v11, v9
	v_fma_f32 v3, -v3, v10, v7
	v_div_fmas_f32 v3, v3, v9, v10
	v_div_fixup_f32 v3, v3, v2, s13
.LBB9_40:
	s_or_b64 exec, exec, s[6:7]
	s_or_b64 exec, exec, s[4:5]
	s_and_saveexec_b64 s[4:5], s[0:1]
	s_xor_b64 s[0:1], exec, s[4:5]
	s_cbranch_execz .LBB9_33
.LBB9_41:
	v_mov_b32_e32 v2, 0
	v_lshlrev_b64 v[0:1], 2, v[1:2]
	v_mov_b32_e32 v2, s9
	v_add_co_u32_e32 v0, vcc, s8, v0
	v_addc_co_u32_e32 v1, vcc, v2, v1, vcc
	global_store_dword v[0:1], v5, off
	v_mov_b32_e32 v0, v8
	s_or_b64 exec, exec, s[0:1]
	v_cmp_gt_i32_e32 vcc, s12, v0
	s_and_saveexec_b64 s[0:1], vcc
	s_cbranch_execz .LBB9_34
.LBB9_42:
	v_add_u32_e32 v1, s2, v0
	v_mov_b32_e32 v2, 0
	v_lshlrev_b64 v[1:2], 2, v[1:2]
	v_mov_b32_e32 v5, s9
	v_add_co_u32_e32 v1, vcc, s8, v1
	v_addc_co_u32_e32 v2, vcc, v5, v2, vcc
	v_add_u32_e32 v0, 0x100, v0
	global_store_dword v[1:2], v6, off
	s_or_b64 exec, exec, s[0:1]
	v_cmp_gt_i32_e32 vcc, s12, v0
	s_and_saveexec_b64 s[0:1], vcc
	s_cbranch_execz .LBB9_35
.LBB9_43:
	v_add_u32_e32 v1, s2, v0
	v_mov_b32_e32 v2, 0
	v_lshlrev_b64 v[1:2], 2, v[1:2]
	v_mov_b32_e32 v5, s9
	v_add_co_u32_e32 v1, vcc, s8, v1
	v_addc_co_u32_e32 v2, vcc, v5, v2, vcc
	v_add_u32_e32 v0, 0x100, v0
	global_store_dword v[1:2], v4, off
	s_or_b64 exec, exec, s[0:1]
	v_cmp_gt_i32_e32 vcc, s12, v0
	s_and_saveexec_b64 s[0:1], vcc
	s_cbranch_execnz .LBB9_36
	s_branch .LBB9_37
	.section	.rodata,"a",@progbits
	.p2align	6, 0x0
	.amdhsa_kernel _ZN2at6native29vectorized_elementwise_kernelILi8EZZZNS0_12_GLOBAL__N_124renorm_scale_factor_implERNS_18TensorIteratorBaseEdENKUlvE_clEvENKUlvE0_clEvEUlfE_St5arrayIPcLm2EEEEviT0_T1_
		.amdhsa_group_segment_fixed_size 0
		.amdhsa_private_segment_fixed_size 0
		.amdhsa_kernarg_size 24
		.amdhsa_user_sgpr_count 6
		.amdhsa_user_sgpr_private_segment_buffer 1
		.amdhsa_user_sgpr_dispatch_ptr 0
		.amdhsa_user_sgpr_queue_ptr 0
		.amdhsa_user_sgpr_kernarg_segment_ptr 1
		.amdhsa_user_sgpr_dispatch_id 0
		.amdhsa_user_sgpr_flat_scratch_init 0
		.amdhsa_user_sgpr_private_segment_size 0
		.amdhsa_uses_dynamic_stack 0
		.amdhsa_system_sgpr_private_segment_wavefront_offset 0
		.amdhsa_system_sgpr_workgroup_id_x 1
		.amdhsa_system_sgpr_workgroup_id_y 0
		.amdhsa_system_sgpr_workgroup_id_z 0
		.amdhsa_system_sgpr_workgroup_info 0
		.amdhsa_system_vgpr_workitem_id 0
		.amdhsa_next_free_vgpr 14
		.amdhsa_next_free_sgpr 14
		.amdhsa_reserve_vcc 1
		.amdhsa_reserve_flat_scratch 0
		.amdhsa_float_round_mode_32 0
		.amdhsa_float_round_mode_16_64 0
		.amdhsa_float_denorm_mode_32 3
		.amdhsa_float_denorm_mode_16_64 3
		.amdhsa_dx10_clamp 1
		.amdhsa_ieee_mode 1
		.amdhsa_fp16_overflow 0
		.amdhsa_exception_fp_ieee_invalid_op 0
		.amdhsa_exception_fp_denorm_src 0
		.amdhsa_exception_fp_ieee_div_zero 0
		.amdhsa_exception_fp_ieee_overflow 0
		.amdhsa_exception_fp_ieee_underflow 0
		.amdhsa_exception_fp_ieee_inexact 0
		.amdhsa_exception_int_div_zero 0
	.end_amdhsa_kernel
	.section	.text._ZN2at6native29vectorized_elementwise_kernelILi8EZZZNS0_12_GLOBAL__N_124renorm_scale_factor_implERNS_18TensorIteratorBaseEdENKUlvE_clEvENKUlvE0_clEvEUlfE_St5arrayIPcLm2EEEEviT0_T1_,"axG",@progbits,_ZN2at6native29vectorized_elementwise_kernelILi8EZZZNS0_12_GLOBAL__N_124renorm_scale_factor_implERNS_18TensorIteratorBaseEdENKUlvE_clEvENKUlvE0_clEvEUlfE_St5arrayIPcLm2EEEEviT0_T1_,comdat
.Lfunc_end9:
	.size	_ZN2at6native29vectorized_elementwise_kernelILi8EZZZNS0_12_GLOBAL__N_124renorm_scale_factor_implERNS_18TensorIteratorBaseEdENKUlvE_clEvENKUlvE0_clEvEUlfE_St5arrayIPcLm2EEEEviT0_T1_, .Lfunc_end9-_ZN2at6native29vectorized_elementwise_kernelILi8EZZZNS0_12_GLOBAL__N_124renorm_scale_factor_implERNS_18TensorIteratorBaseEdENKUlvE_clEvENKUlvE0_clEvEUlfE_St5arrayIPcLm2EEEEviT0_T1_
                                        ; -- End function
	.set _ZN2at6native29vectorized_elementwise_kernelILi8EZZZNS0_12_GLOBAL__N_124renorm_scale_factor_implERNS_18TensorIteratorBaseEdENKUlvE_clEvENKUlvE0_clEvEUlfE_St5arrayIPcLm2EEEEviT0_T1_.num_vgpr, 14
	.set _ZN2at6native29vectorized_elementwise_kernelILi8EZZZNS0_12_GLOBAL__N_124renorm_scale_factor_implERNS_18TensorIteratorBaseEdENKUlvE_clEvENKUlvE0_clEvEUlfE_St5arrayIPcLm2EEEEviT0_T1_.num_agpr, 0
	.set _ZN2at6native29vectorized_elementwise_kernelILi8EZZZNS0_12_GLOBAL__N_124renorm_scale_factor_implERNS_18TensorIteratorBaseEdENKUlvE_clEvENKUlvE0_clEvEUlfE_St5arrayIPcLm2EEEEviT0_T1_.numbered_sgpr, 14
	.set _ZN2at6native29vectorized_elementwise_kernelILi8EZZZNS0_12_GLOBAL__N_124renorm_scale_factor_implERNS_18TensorIteratorBaseEdENKUlvE_clEvENKUlvE0_clEvEUlfE_St5arrayIPcLm2EEEEviT0_T1_.num_named_barrier, 0
	.set _ZN2at6native29vectorized_elementwise_kernelILi8EZZZNS0_12_GLOBAL__N_124renorm_scale_factor_implERNS_18TensorIteratorBaseEdENKUlvE_clEvENKUlvE0_clEvEUlfE_St5arrayIPcLm2EEEEviT0_T1_.private_seg_size, 0
	.set _ZN2at6native29vectorized_elementwise_kernelILi8EZZZNS0_12_GLOBAL__N_124renorm_scale_factor_implERNS_18TensorIteratorBaseEdENKUlvE_clEvENKUlvE0_clEvEUlfE_St5arrayIPcLm2EEEEviT0_T1_.uses_vcc, 1
	.set _ZN2at6native29vectorized_elementwise_kernelILi8EZZZNS0_12_GLOBAL__N_124renorm_scale_factor_implERNS_18TensorIteratorBaseEdENKUlvE_clEvENKUlvE0_clEvEUlfE_St5arrayIPcLm2EEEEviT0_T1_.uses_flat_scratch, 0
	.set _ZN2at6native29vectorized_elementwise_kernelILi8EZZZNS0_12_GLOBAL__N_124renorm_scale_factor_implERNS_18TensorIteratorBaseEdENKUlvE_clEvENKUlvE0_clEvEUlfE_St5arrayIPcLm2EEEEviT0_T1_.has_dyn_sized_stack, 0
	.set _ZN2at6native29vectorized_elementwise_kernelILi8EZZZNS0_12_GLOBAL__N_124renorm_scale_factor_implERNS_18TensorIteratorBaseEdENKUlvE_clEvENKUlvE0_clEvEUlfE_St5arrayIPcLm2EEEEviT0_T1_.has_recursion, 0
	.set _ZN2at6native29vectorized_elementwise_kernelILi8EZZZNS0_12_GLOBAL__N_124renorm_scale_factor_implERNS_18TensorIteratorBaseEdENKUlvE_clEvENKUlvE0_clEvEUlfE_St5arrayIPcLm2EEEEviT0_T1_.has_indirect_call, 0
	.section	.AMDGPU.csdata,"",@progbits
; Kernel info:
; codeLenInByte = 1568
; TotalNumSgprs: 18
; NumVgprs: 14
; ScratchSize: 0
; MemoryBound: 0
; FloatMode: 240
; IeeeMode: 1
; LDSByteSize: 0 bytes/workgroup (compile time only)
; SGPRBlocks: 2
; VGPRBlocks: 3
; NumSGPRsForWavesPerEU: 18
; NumVGPRsForWavesPerEU: 14
; Occupancy: 10
; WaveLimiterHint : 0
; COMPUTE_PGM_RSRC2:SCRATCH_EN: 0
; COMPUTE_PGM_RSRC2:USER_SGPR: 6
; COMPUTE_PGM_RSRC2:TRAP_HANDLER: 0
; COMPUTE_PGM_RSRC2:TGID_X_EN: 1
; COMPUTE_PGM_RSRC2:TGID_Y_EN: 0
; COMPUTE_PGM_RSRC2:TGID_Z_EN: 0
; COMPUTE_PGM_RSRC2:TIDIG_COMP_CNT: 0
	.section	.text._ZN2at6native29vectorized_elementwise_kernelILi4EZZZNS0_12_GLOBAL__N_124renorm_scale_factor_implERNS_18TensorIteratorBaseEdENKUlvE_clEvENKUlvE0_clEvEUlfE_St5arrayIPcLm2EEEEviT0_T1_,"axG",@progbits,_ZN2at6native29vectorized_elementwise_kernelILi4EZZZNS0_12_GLOBAL__N_124renorm_scale_factor_implERNS_18TensorIteratorBaseEdENKUlvE_clEvENKUlvE0_clEvEUlfE_St5arrayIPcLm2EEEEviT0_T1_,comdat
	.globl	_ZN2at6native29vectorized_elementwise_kernelILi4EZZZNS0_12_GLOBAL__N_124renorm_scale_factor_implERNS_18TensorIteratorBaseEdENKUlvE_clEvENKUlvE0_clEvEUlfE_St5arrayIPcLm2EEEEviT0_T1_ ; -- Begin function _ZN2at6native29vectorized_elementwise_kernelILi4EZZZNS0_12_GLOBAL__N_124renorm_scale_factor_implERNS_18TensorIteratorBaseEdENKUlvE_clEvENKUlvE0_clEvEUlfE_St5arrayIPcLm2EEEEviT0_T1_
	.p2align	8
	.type	_ZN2at6native29vectorized_elementwise_kernelILi4EZZZNS0_12_GLOBAL__N_124renorm_scale_factor_implERNS_18TensorIteratorBaseEdENKUlvE_clEvENKUlvE0_clEvEUlfE_St5arrayIPcLm2EEEEviT0_T1_,@function
_ZN2at6native29vectorized_elementwise_kernelILi4EZZZNS0_12_GLOBAL__N_124renorm_scale_factor_implERNS_18TensorIteratorBaseEdENKUlvE_clEvENKUlvE0_clEvEUlfE_St5arrayIPcLm2EEEEviT0_T1_: ; @_ZN2at6native29vectorized_elementwise_kernelILi4EZZZNS0_12_GLOBAL__N_124renorm_scale_factor_implERNS_18TensorIteratorBaseEdENKUlvE_clEvENKUlvE0_clEvEUlfE_St5arrayIPcLm2EEEEviT0_T1_
; %bb.0:
	s_load_dwordx2 s[12:13], s[4:5], 0x0
	s_load_dwordx4 s[8:11], s[4:5], 0x8
	s_lshl_b32 s2, s6, 10
	s_mov_b64 s[0:1], -1
	s_waitcnt lgkmcnt(0)
	s_sub_i32 s12, s12, s2
	s_cmpk_gt_i32 s12, 0x3ff
	s_cbranch_scc0 .LBB10_10
; %bb.1:
	s_ashr_i32 s3, s2, 31
	s_lshl_b64 s[0:1], s[2:3], 2
	s_add_u32 s4, s10, s0
	s_addc_u32 s5, s11, s1
	v_lshlrev_b32_e32 v7, 4, v0
	global_load_dwordx4 v[3:6], v7, s[4:5]
	v_mov_b32_e32 v2, 1.0
	v_mov_b32_e32 v1, 1.0
	s_waitcnt vmcnt(0)
	v_cmp_lt_f32_e32 vcc, s13, v3
	s_and_saveexec_b64 s[4:5], vcc
	s_cbranch_execz .LBB10_3
; %bb.2:
	v_add_f32_e32 v1, 0x33d6bf95, v3
	v_div_scale_f32 v3, s[6:7], v1, v1, s13
	v_div_scale_f32 v8, vcc, s13, v1, s13
	v_rcp_f32_e32 v9, v3
	v_fma_f32 v10, -v3, v9, 1.0
	v_fmac_f32_e32 v9, v10, v9
	v_mul_f32_e32 v10, v8, v9
	v_fma_f32 v11, -v3, v10, v8
	v_fmac_f32_e32 v10, v11, v9
	v_fma_f32 v3, -v3, v10, v8
	v_div_fmas_f32 v3, v3, v9, v10
	v_div_fixup_f32 v1, v3, v1, s13
.LBB10_3:
	s_or_b64 exec, exec, s[4:5]
	v_cmp_lt_f32_e32 vcc, s13, v4
	s_and_saveexec_b64 s[4:5], vcc
	s_cbranch_execz .LBB10_5
; %bb.4:
	v_add_f32_e32 v2, 0x33d6bf95, v4
	v_div_scale_f32 v3, s[6:7], v2, v2, s13
	v_div_scale_f32 v4, vcc, s13, v2, s13
	v_rcp_f32_e32 v8, v3
	v_fma_f32 v9, -v3, v8, 1.0
	v_fmac_f32_e32 v8, v9, v8
	v_mul_f32_e32 v9, v4, v8
	v_fma_f32 v10, -v3, v9, v4
	v_fmac_f32_e32 v9, v10, v8
	v_fma_f32 v3, -v3, v9, v4
	v_div_fmas_f32 v3, v3, v8, v9
	v_div_fixup_f32 v2, v3, v2, s13
.LBB10_5:
	s_or_b64 exec, exec, s[4:5]
	v_cmp_lt_f32_e32 vcc, s13, v5
	v_mov_b32_e32 v4, 1.0
	v_mov_b32_e32 v3, 1.0
	s_and_saveexec_b64 s[4:5], vcc
	s_cbranch_execz .LBB10_7
; %bb.6:
	v_add_f32_e32 v3, 0x33d6bf95, v5
	v_div_scale_f32 v5, s[6:7], v3, v3, s13
	v_div_scale_f32 v8, vcc, s13, v3, s13
	v_rcp_f32_e32 v9, v5
	v_fma_f32 v10, -v5, v9, 1.0
	v_fmac_f32_e32 v9, v10, v9
	v_mul_f32_e32 v10, v8, v9
	v_fma_f32 v11, -v5, v10, v8
	v_fmac_f32_e32 v10, v11, v9
	v_fma_f32 v5, -v5, v10, v8
	v_div_fmas_f32 v5, v5, v9, v10
	v_div_fixup_f32 v3, v5, v3, s13
.LBB10_7:
	s_or_b64 exec, exec, s[4:5]
	v_cmp_lt_f32_e32 vcc, s13, v6
	s_and_saveexec_b64 s[4:5], vcc
	s_cbranch_execz .LBB10_9
; %bb.8:
	v_add_f32_e32 v4, 0x33d6bf95, v6
	v_div_scale_f32 v5, s[6:7], v4, v4, s13
	v_div_scale_f32 v6, vcc, s13, v4, s13
	v_rcp_f32_e32 v8, v5
	v_fma_f32 v9, -v5, v8, 1.0
	v_fmac_f32_e32 v8, v9, v8
	v_mul_f32_e32 v9, v6, v8
	v_fma_f32 v10, -v5, v9, v6
	v_fmac_f32_e32 v9, v10, v8
	v_fma_f32 v5, -v5, v9, v6
	v_div_fmas_f32 v5, v5, v8, v9
	v_div_fixup_f32 v4, v5, v4, s13
.LBB10_9:
	s_or_b64 exec, exec, s[4:5]
	s_add_u32 s0, s8, s0
	s_addc_u32 s1, s9, s1
	global_store_dwordx4 v7, v[1:4], s[0:1]
	s_mov_b64 s[0:1], 0
.LBB10_10:
	s_and_b64 vcc, exec, s[0:1]
	s_cbranch_vccz .LBB10_37
; %bb.11:
	v_cmp_gt_i32_e64 s[0:1], s12, v0
	v_mov_b32_e32 v7, 0
	v_or_b32_e32 v1, s2, v0
	v_mov_b32_e32 v8, 0
	v_mov_b32_e32 v3, v0
	s_and_saveexec_b64 s[4:5], s[0:1]
	s_cbranch_execz .LBB10_13
; %bb.12:
	v_mov_b32_e32 v2, 0
	v_lshlrev_b64 v[2:3], 2, v[1:2]
	v_mov_b32_e32 v4, s11
	v_add_co_u32_e32 v2, vcc, s10, v2
	v_addc_co_u32_e32 v3, vcc, v4, v3, vcc
	global_load_dword v8, v[2:3], off
	v_or_b32_e32 v3, 0x100, v0
.LBB10_13:
	s_or_b64 exec, exec, s[4:5]
	v_cmp_gt_i32_e32 vcc, s12, v3
	s_and_saveexec_b64 s[4:5], vcc
	s_cbranch_execz .LBB10_15
; %bb.14:
	v_add_u32_e32 v4, s2, v3
	v_mov_b32_e32 v5, 0
	v_lshlrev_b64 v[4:5], 2, v[4:5]
	v_mov_b32_e32 v2, s11
	v_add_co_u32_e32 v4, vcc, s10, v4
	v_addc_co_u32_e32 v5, vcc, v2, v5, vcc
	global_load_dword v7, v[4:5], off
	v_add_u32_e32 v3, 0x100, v3
.LBB10_15:
	s_or_b64 exec, exec, s[4:5]
	v_cmp_gt_i32_e32 vcc, s12, v3
	v_mov_b32_e32 v2, 0
	v_mov_b32_e32 v9, 0
	s_and_saveexec_b64 s[4:5], vcc
	s_cbranch_execz .LBB10_17
; %bb.16:
	v_add_u32_e32 v4, s2, v3
	v_mov_b32_e32 v5, 0
	v_lshlrev_b64 v[4:5], 2, v[4:5]
	v_mov_b32_e32 v6, s11
	v_add_co_u32_e32 v4, vcc, s10, v4
	v_addc_co_u32_e32 v5, vcc, v6, v5, vcc
	global_load_dword v9, v[4:5], off
	v_add_u32_e32 v3, 0x100, v3
.LBB10_17:
	s_or_b64 exec, exec, s[4:5]
	v_cmp_gt_i32_e32 vcc, s12, v3
	s_and_saveexec_b64 s[4:5], vcc
	s_cbranch_execz .LBB10_19
; %bb.18:
	v_add_u32_e32 v2, s2, v3
	v_mov_b32_e32 v3, 0
	v_lshlrev_b64 v[2:3], 2, v[2:3]
	v_mov_b32_e32 v4, s11
	v_add_co_u32_e32 v2, vcc, s10, v2
	v_addc_co_u32_e32 v3, vcc, v4, v3, vcc
	global_load_dword v2, v[2:3], off
.LBB10_19:
	s_or_b64 exec, exec, s[4:5]
	v_mov_b32_e32 v5, 0
	v_mov_b32_e32 v6, v5
	;; [unrolled: 1-line block ×4, first 2 shown]
	s_and_saveexec_b64 s[4:5], s[0:1]
	s_cbranch_execz .LBB10_23
; %bb.20:
	s_waitcnt vmcnt(0)
	v_cmp_lt_f32_e32 vcc, s13, v8
	v_mov_b32_e32 v5, 1.0
	s_and_saveexec_b64 s[6:7], vcc
	s_cbranch_execz .LBB10_22
; %bb.21:
	v_add_f32_e32 v3, 0x33d6bf95, v8
	v_div_scale_f32 v4, s[10:11], v3, v3, s13
	v_div_scale_f32 v5, vcc, s13, v3, s13
	v_rcp_f32_e32 v6, v4
	v_fma_f32 v8, -v4, v6, 1.0
	v_fmac_f32_e32 v6, v8, v6
	v_mul_f32_e32 v8, v5, v6
	v_fma_f32 v10, -v4, v8, v5
	v_fmac_f32_e32 v8, v10, v6
	v_fma_f32 v4, -v4, v8, v5
	v_div_fmas_f32 v4, v4, v6, v8
	v_div_fixup_f32 v5, v4, v3, s13
.LBB10_22:
	s_or_b64 exec, exec, s[6:7]
	v_mov_b32_e32 v6, 0
	v_mov_b32_e32 v4, v6
	;; [unrolled: 1-line block ×3, first 2 shown]
.LBB10_23:
	s_or_b64 exec, exec, s[4:5]
	s_waitcnt vmcnt(0)
	v_or_b32_e32 v8, 0x100, v0
	v_cmp_gt_i32_e32 vcc, s12, v8
	s_and_saveexec_b64 s[4:5], vcc
	s_cbranch_execz .LBB10_27
; %bb.24:
	v_cmp_lt_f32_e32 vcc, s13, v7
	v_mov_b32_e32 v6, 1.0
	s_and_saveexec_b64 s[6:7], vcc
	s_cbranch_execz .LBB10_26
; %bb.25:
	v_add_f32_e32 v6, 0x33d6bf95, v7
	v_div_scale_f32 v7, s[10:11], v6, v6, s13
	v_div_scale_f32 v10, vcc, s13, v6, s13
	v_rcp_f32_e32 v11, v7
	v_fma_f32 v12, -v7, v11, 1.0
	v_fmac_f32_e32 v11, v12, v11
	v_mul_f32_e32 v12, v10, v11
	v_fma_f32 v13, -v7, v12, v10
	v_fmac_f32_e32 v12, v13, v11
	v_fma_f32 v7, -v7, v12, v10
	v_div_fmas_f32 v7, v7, v11, v12
	v_div_fixup_f32 v6, v7, v6, s13
.LBB10_26:
	s_or_b64 exec, exec, s[6:7]
.LBB10_27:
	s_or_b64 exec, exec, s[4:5]
	v_or_b32_e32 v7, 0x200, v0
	v_cmp_gt_i32_e32 vcc, s12, v7
	s_and_saveexec_b64 s[4:5], vcc
	s_cbranch_execz .LBB10_31
; %bb.28:
	v_cmp_lt_f32_e32 vcc, s13, v9
	v_mov_b32_e32 v4, 1.0
	s_and_saveexec_b64 s[6:7], vcc
	s_cbranch_execz .LBB10_30
; %bb.29:
	v_add_f32_e32 v4, 0x33d6bf95, v9
	v_div_scale_f32 v7, s[10:11], v4, v4, s13
	v_div_scale_f32 v9, vcc, s13, v4, s13
	v_rcp_f32_e32 v10, v7
	v_fma_f32 v11, -v7, v10, 1.0
	v_fmac_f32_e32 v10, v11, v10
	v_mul_f32_e32 v11, v9, v10
	v_fma_f32 v12, -v7, v11, v9
	v_fmac_f32_e32 v11, v12, v10
	v_fma_f32 v7, -v7, v11, v9
	v_div_fmas_f32 v7, v7, v10, v11
	v_div_fixup_f32 v4, v7, v4, s13
.LBB10_30:
	s_or_b64 exec, exec, s[6:7]
.LBB10_31:
	s_or_b64 exec, exec, s[4:5]
	v_or_b32_e32 v7, 0x300, v0
	v_cmp_gt_i32_e32 vcc, s12, v7
	s_and_saveexec_b64 s[4:5], vcc
	s_cbranch_execnz .LBB10_38
; %bb.32:
	s_or_b64 exec, exec, s[4:5]
	s_and_saveexec_b64 s[4:5], s[0:1]
	s_xor_b64 s[0:1], exec, s[4:5]
	s_cbranch_execnz .LBB10_41
.LBB10_33:
	s_or_b64 exec, exec, s[0:1]
	v_cmp_gt_i32_e32 vcc, s12, v0
	s_and_saveexec_b64 s[0:1], vcc
	s_cbranch_execnz .LBB10_42
.LBB10_34:
	s_or_b64 exec, exec, s[0:1]
	v_cmp_gt_i32_e32 vcc, s12, v0
	s_and_saveexec_b64 s[0:1], vcc
	s_cbranch_execnz .LBB10_43
.LBB10_35:
	s_or_b64 exec, exec, s[0:1]
	v_cmp_gt_i32_e32 vcc, s12, v0
	s_and_saveexec_b64 s[0:1], vcc
	s_cbranch_execz .LBB10_37
.LBB10_36:
	v_add_u32_e32 v0, s2, v0
	v_mov_b32_e32 v1, 0
	v_lshlrev_b64 v[0:1], 2, v[0:1]
	v_mov_b32_e32 v2, s9
	v_add_co_u32_e32 v0, vcc, s8, v0
	v_addc_co_u32_e32 v1, vcc, v2, v1, vcc
	global_store_dword v[0:1], v3, off
.LBB10_37:
	s_endpgm
.LBB10_38:
	v_cmp_lt_f32_e32 vcc, s13, v2
	v_mov_b32_e32 v3, 1.0
	s_and_saveexec_b64 s[6:7], vcc
	s_cbranch_execz .LBB10_40
; %bb.39:
	v_add_f32_e32 v2, 0x33d6bf95, v2
	v_div_scale_f32 v3, s[10:11], v2, v2, s13
	v_div_scale_f32 v7, vcc, s13, v2, s13
	v_rcp_f32_e32 v9, v3
	v_fma_f32 v10, -v3, v9, 1.0
	v_fmac_f32_e32 v9, v10, v9
	v_mul_f32_e32 v10, v7, v9
	v_fma_f32 v11, -v3, v10, v7
	v_fmac_f32_e32 v10, v11, v9
	v_fma_f32 v3, -v3, v10, v7
	v_div_fmas_f32 v3, v3, v9, v10
	v_div_fixup_f32 v3, v3, v2, s13
.LBB10_40:
	s_or_b64 exec, exec, s[6:7]
	s_or_b64 exec, exec, s[4:5]
	s_and_saveexec_b64 s[4:5], s[0:1]
	s_xor_b64 s[0:1], exec, s[4:5]
	s_cbranch_execz .LBB10_33
.LBB10_41:
	v_mov_b32_e32 v2, 0
	v_lshlrev_b64 v[0:1], 2, v[1:2]
	v_mov_b32_e32 v2, s9
	v_add_co_u32_e32 v0, vcc, s8, v0
	v_addc_co_u32_e32 v1, vcc, v2, v1, vcc
	global_store_dword v[0:1], v5, off
	v_mov_b32_e32 v0, v8
	s_or_b64 exec, exec, s[0:1]
	v_cmp_gt_i32_e32 vcc, s12, v0
	s_and_saveexec_b64 s[0:1], vcc
	s_cbranch_execz .LBB10_34
.LBB10_42:
	v_add_u32_e32 v1, s2, v0
	v_mov_b32_e32 v2, 0
	v_lshlrev_b64 v[1:2], 2, v[1:2]
	v_mov_b32_e32 v5, s9
	v_add_co_u32_e32 v1, vcc, s8, v1
	v_addc_co_u32_e32 v2, vcc, v5, v2, vcc
	v_add_u32_e32 v0, 0x100, v0
	global_store_dword v[1:2], v6, off
	s_or_b64 exec, exec, s[0:1]
	v_cmp_gt_i32_e32 vcc, s12, v0
	s_and_saveexec_b64 s[0:1], vcc
	s_cbranch_execz .LBB10_35
.LBB10_43:
	v_add_u32_e32 v1, s2, v0
	v_mov_b32_e32 v2, 0
	v_lshlrev_b64 v[1:2], 2, v[1:2]
	v_mov_b32_e32 v5, s9
	v_add_co_u32_e32 v1, vcc, s8, v1
	v_addc_co_u32_e32 v2, vcc, v5, v2, vcc
	v_add_u32_e32 v0, 0x100, v0
	global_store_dword v[1:2], v4, off
	s_or_b64 exec, exec, s[0:1]
	v_cmp_gt_i32_e32 vcc, s12, v0
	s_and_saveexec_b64 s[0:1], vcc
	s_cbranch_execnz .LBB10_36
	s_branch .LBB10_37
	.section	.rodata,"a",@progbits
	.p2align	6, 0x0
	.amdhsa_kernel _ZN2at6native29vectorized_elementwise_kernelILi4EZZZNS0_12_GLOBAL__N_124renorm_scale_factor_implERNS_18TensorIteratorBaseEdENKUlvE_clEvENKUlvE0_clEvEUlfE_St5arrayIPcLm2EEEEviT0_T1_
		.amdhsa_group_segment_fixed_size 0
		.amdhsa_private_segment_fixed_size 0
		.amdhsa_kernarg_size 24
		.amdhsa_user_sgpr_count 6
		.amdhsa_user_sgpr_private_segment_buffer 1
		.amdhsa_user_sgpr_dispatch_ptr 0
		.amdhsa_user_sgpr_queue_ptr 0
		.amdhsa_user_sgpr_kernarg_segment_ptr 1
		.amdhsa_user_sgpr_dispatch_id 0
		.amdhsa_user_sgpr_flat_scratch_init 0
		.amdhsa_user_sgpr_private_segment_size 0
		.amdhsa_uses_dynamic_stack 0
		.amdhsa_system_sgpr_private_segment_wavefront_offset 0
		.amdhsa_system_sgpr_workgroup_id_x 1
		.amdhsa_system_sgpr_workgroup_id_y 0
		.amdhsa_system_sgpr_workgroup_id_z 0
		.amdhsa_system_sgpr_workgroup_info 0
		.amdhsa_system_vgpr_workitem_id 0
		.amdhsa_next_free_vgpr 14
		.amdhsa_next_free_sgpr 14
		.amdhsa_reserve_vcc 1
		.amdhsa_reserve_flat_scratch 0
		.amdhsa_float_round_mode_32 0
		.amdhsa_float_round_mode_16_64 0
		.amdhsa_float_denorm_mode_32 3
		.amdhsa_float_denorm_mode_16_64 3
		.amdhsa_dx10_clamp 1
		.amdhsa_ieee_mode 1
		.amdhsa_fp16_overflow 0
		.amdhsa_exception_fp_ieee_invalid_op 0
		.amdhsa_exception_fp_denorm_src 0
		.amdhsa_exception_fp_ieee_div_zero 0
		.amdhsa_exception_fp_ieee_overflow 0
		.amdhsa_exception_fp_ieee_underflow 0
		.amdhsa_exception_fp_ieee_inexact 0
		.amdhsa_exception_int_div_zero 0
	.end_amdhsa_kernel
	.section	.text._ZN2at6native29vectorized_elementwise_kernelILi4EZZZNS0_12_GLOBAL__N_124renorm_scale_factor_implERNS_18TensorIteratorBaseEdENKUlvE_clEvENKUlvE0_clEvEUlfE_St5arrayIPcLm2EEEEviT0_T1_,"axG",@progbits,_ZN2at6native29vectorized_elementwise_kernelILi4EZZZNS0_12_GLOBAL__N_124renorm_scale_factor_implERNS_18TensorIteratorBaseEdENKUlvE_clEvENKUlvE0_clEvEUlfE_St5arrayIPcLm2EEEEviT0_T1_,comdat
.Lfunc_end10:
	.size	_ZN2at6native29vectorized_elementwise_kernelILi4EZZZNS0_12_GLOBAL__N_124renorm_scale_factor_implERNS_18TensorIteratorBaseEdENKUlvE_clEvENKUlvE0_clEvEUlfE_St5arrayIPcLm2EEEEviT0_T1_, .Lfunc_end10-_ZN2at6native29vectorized_elementwise_kernelILi4EZZZNS0_12_GLOBAL__N_124renorm_scale_factor_implERNS_18TensorIteratorBaseEdENKUlvE_clEvENKUlvE0_clEvEUlfE_St5arrayIPcLm2EEEEviT0_T1_
                                        ; -- End function
	.set _ZN2at6native29vectorized_elementwise_kernelILi4EZZZNS0_12_GLOBAL__N_124renorm_scale_factor_implERNS_18TensorIteratorBaseEdENKUlvE_clEvENKUlvE0_clEvEUlfE_St5arrayIPcLm2EEEEviT0_T1_.num_vgpr, 14
	.set _ZN2at6native29vectorized_elementwise_kernelILi4EZZZNS0_12_GLOBAL__N_124renorm_scale_factor_implERNS_18TensorIteratorBaseEdENKUlvE_clEvENKUlvE0_clEvEUlfE_St5arrayIPcLm2EEEEviT0_T1_.num_agpr, 0
	.set _ZN2at6native29vectorized_elementwise_kernelILi4EZZZNS0_12_GLOBAL__N_124renorm_scale_factor_implERNS_18TensorIteratorBaseEdENKUlvE_clEvENKUlvE0_clEvEUlfE_St5arrayIPcLm2EEEEviT0_T1_.numbered_sgpr, 14
	.set _ZN2at6native29vectorized_elementwise_kernelILi4EZZZNS0_12_GLOBAL__N_124renorm_scale_factor_implERNS_18TensorIteratorBaseEdENKUlvE_clEvENKUlvE0_clEvEUlfE_St5arrayIPcLm2EEEEviT0_T1_.num_named_barrier, 0
	.set _ZN2at6native29vectorized_elementwise_kernelILi4EZZZNS0_12_GLOBAL__N_124renorm_scale_factor_implERNS_18TensorIteratorBaseEdENKUlvE_clEvENKUlvE0_clEvEUlfE_St5arrayIPcLm2EEEEviT0_T1_.private_seg_size, 0
	.set _ZN2at6native29vectorized_elementwise_kernelILi4EZZZNS0_12_GLOBAL__N_124renorm_scale_factor_implERNS_18TensorIteratorBaseEdENKUlvE_clEvENKUlvE0_clEvEUlfE_St5arrayIPcLm2EEEEviT0_T1_.uses_vcc, 1
	.set _ZN2at6native29vectorized_elementwise_kernelILi4EZZZNS0_12_GLOBAL__N_124renorm_scale_factor_implERNS_18TensorIteratorBaseEdENKUlvE_clEvENKUlvE0_clEvEUlfE_St5arrayIPcLm2EEEEviT0_T1_.uses_flat_scratch, 0
	.set _ZN2at6native29vectorized_elementwise_kernelILi4EZZZNS0_12_GLOBAL__N_124renorm_scale_factor_implERNS_18TensorIteratorBaseEdENKUlvE_clEvENKUlvE0_clEvEUlfE_St5arrayIPcLm2EEEEviT0_T1_.has_dyn_sized_stack, 0
	.set _ZN2at6native29vectorized_elementwise_kernelILi4EZZZNS0_12_GLOBAL__N_124renorm_scale_factor_implERNS_18TensorIteratorBaseEdENKUlvE_clEvENKUlvE0_clEvEUlfE_St5arrayIPcLm2EEEEviT0_T1_.has_recursion, 0
	.set _ZN2at6native29vectorized_elementwise_kernelILi4EZZZNS0_12_GLOBAL__N_124renorm_scale_factor_implERNS_18TensorIteratorBaseEdENKUlvE_clEvENKUlvE0_clEvEUlfE_St5arrayIPcLm2EEEEviT0_T1_.has_indirect_call, 0
	.section	.AMDGPU.csdata,"",@progbits
; Kernel info:
; codeLenInByte = 1568
; TotalNumSgprs: 18
; NumVgprs: 14
; ScratchSize: 0
; MemoryBound: 0
; FloatMode: 240
; IeeeMode: 1
; LDSByteSize: 0 bytes/workgroup (compile time only)
; SGPRBlocks: 2
; VGPRBlocks: 3
; NumSGPRsForWavesPerEU: 18
; NumVGPRsForWavesPerEU: 14
; Occupancy: 10
; WaveLimiterHint : 0
; COMPUTE_PGM_RSRC2:SCRATCH_EN: 0
; COMPUTE_PGM_RSRC2:USER_SGPR: 6
; COMPUTE_PGM_RSRC2:TRAP_HANDLER: 0
; COMPUTE_PGM_RSRC2:TGID_X_EN: 1
; COMPUTE_PGM_RSRC2:TGID_Y_EN: 0
; COMPUTE_PGM_RSRC2:TGID_Z_EN: 0
; COMPUTE_PGM_RSRC2:TIDIG_COMP_CNT: 0
	.section	.text._ZN2at6native29vectorized_elementwise_kernelILi2EZZZNS0_12_GLOBAL__N_124renorm_scale_factor_implERNS_18TensorIteratorBaseEdENKUlvE_clEvENKUlvE0_clEvEUlfE_St5arrayIPcLm2EEEEviT0_T1_,"axG",@progbits,_ZN2at6native29vectorized_elementwise_kernelILi2EZZZNS0_12_GLOBAL__N_124renorm_scale_factor_implERNS_18TensorIteratorBaseEdENKUlvE_clEvENKUlvE0_clEvEUlfE_St5arrayIPcLm2EEEEviT0_T1_,comdat
	.globl	_ZN2at6native29vectorized_elementwise_kernelILi2EZZZNS0_12_GLOBAL__N_124renorm_scale_factor_implERNS_18TensorIteratorBaseEdENKUlvE_clEvENKUlvE0_clEvEUlfE_St5arrayIPcLm2EEEEviT0_T1_ ; -- Begin function _ZN2at6native29vectorized_elementwise_kernelILi2EZZZNS0_12_GLOBAL__N_124renorm_scale_factor_implERNS_18TensorIteratorBaseEdENKUlvE_clEvENKUlvE0_clEvEUlfE_St5arrayIPcLm2EEEEviT0_T1_
	.p2align	8
	.type	_ZN2at6native29vectorized_elementwise_kernelILi2EZZZNS0_12_GLOBAL__N_124renorm_scale_factor_implERNS_18TensorIteratorBaseEdENKUlvE_clEvENKUlvE0_clEvEUlfE_St5arrayIPcLm2EEEEviT0_T1_,@function
_ZN2at6native29vectorized_elementwise_kernelILi2EZZZNS0_12_GLOBAL__N_124renorm_scale_factor_implERNS_18TensorIteratorBaseEdENKUlvE_clEvENKUlvE0_clEvEUlfE_St5arrayIPcLm2EEEEviT0_T1_: ; @_ZN2at6native29vectorized_elementwise_kernelILi2EZZZNS0_12_GLOBAL__N_124renorm_scale_factor_implERNS_18TensorIteratorBaseEdENKUlvE_clEvENKUlvE0_clEvEUlfE_St5arrayIPcLm2EEEEviT0_T1_
; %bb.0:
	s_load_dwordx2 s[12:13], s[4:5], 0x0
	s_load_dwordx4 s[8:11], s[4:5], 0x8
	s_lshl_b32 s2, s6, 10
	s_mov_b64 s[0:1], -1
	s_waitcnt lgkmcnt(0)
	s_sub_i32 s12, s12, s2
	s_cmpk_gt_i32 s12, 0x3ff
	s_cbranch_scc0 .LBB11_10
; %bb.1:
	s_ashr_i32 s3, s2, 31
	s_lshl_b64 s[0:1], s[2:3], 2
	s_add_u32 s4, s10, s0
	s_addc_u32 s5, s11, s1
	v_lshlrev_b32_e32 v7, 3, v0
	global_load_dwordx2 v[5:6], v7, s[4:5]
	global_load_dwordx2 v[3:4], v7, s[4:5] offset:2048
	v_mov_b32_e32 v2, 1.0
	v_mov_b32_e32 v1, 1.0
	s_waitcnt vmcnt(1)
	v_cmp_lt_f32_e32 vcc, s13, v5
	s_and_saveexec_b64 s[4:5], vcc
	s_cbranch_execz .LBB11_3
; %bb.2:
	v_add_f32_e32 v1, 0x33d6bf95, v5
	v_div_scale_f32 v5, s[6:7], v1, v1, s13
	v_div_scale_f32 v8, vcc, s13, v1, s13
	v_rcp_f32_e32 v9, v5
	v_fma_f32 v10, -v5, v9, 1.0
	v_fmac_f32_e32 v9, v10, v9
	v_mul_f32_e32 v10, v8, v9
	v_fma_f32 v11, -v5, v10, v8
	v_fmac_f32_e32 v10, v11, v9
	v_fma_f32 v5, -v5, v10, v8
	v_div_fmas_f32 v5, v5, v9, v10
	v_div_fixup_f32 v1, v5, v1, s13
.LBB11_3:
	s_or_b64 exec, exec, s[4:5]
	v_cmp_lt_f32_e32 vcc, s13, v6
	s_and_saveexec_b64 s[4:5], vcc
	s_cbranch_execz .LBB11_5
; %bb.4:
	v_add_f32_e32 v2, 0x33d6bf95, v6
	v_div_scale_f32 v5, s[6:7], v2, v2, s13
	v_div_scale_f32 v6, vcc, s13, v2, s13
	v_rcp_f32_e32 v8, v5
	v_fma_f32 v9, -v5, v8, 1.0
	v_fmac_f32_e32 v8, v9, v8
	v_mul_f32_e32 v9, v6, v8
	v_fma_f32 v10, -v5, v9, v6
	v_fmac_f32_e32 v9, v10, v8
	v_fma_f32 v5, -v5, v9, v6
	v_div_fmas_f32 v5, v5, v8, v9
	v_div_fixup_f32 v2, v5, v2, s13
.LBB11_5:
	s_or_b64 exec, exec, s[4:5]
	s_waitcnt vmcnt(0)
	v_cmp_lt_f32_e32 vcc, s13, v3
	v_mov_b32_e32 v6, 1.0
	v_mov_b32_e32 v5, 1.0
	s_and_saveexec_b64 s[4:5], vcc
	s_cbranch_execz .LBB11_7
; %bb.6:
	v_add_f32_e32 v3, 0x33d6bf95, v3
	v_div_scale_f32 v5, s[6:7], v3, v3, s13
	v_div_scale_f32 v8, vcc, s13, v3, s13
	v_rcp_f32_e32 v9, v5
	v_fma_f32 v10, -v5, v9, 1.0
	v_fmac_f32_e32 v9, v10, v9
	v_mul_f32_e32 v10, v8, v9
	v_fma_f32 v11, -v5, v10, v8
	v_fmac_f32_e32 v10, v11, v9
	v_fma_f32 v5, -v5, v10, v8
	v_div_fmas_f32 v5, v5, v9, v10
	v_div_fixup_f32 v5, v5, v3, s13
.LBB11_7:
	s_or_b64 exec, exec, s[4:5]
	v_cmp_lt_f32_e32 vcc, s13, v4
	s_and_saveexec_b64 s[4:5], vcc
	s_cbranch_execz .LBB11_9
; %bb.8:
	v_add_f32_e32 v3, 0x33d6bf95, v4
	v_div_scale_f32 v4, s[6:7], v3, v3, s13
	v_div_scale_f32 v6, vcc, s13, v3, s13
	v_rcp_f32_e32 v8, v4
	v_fma_f32 v9, -v4, v8, 1.0
	v_fmac_f32_e32 v8, v9, v8
	v_mul_f32_e32 v9, v6, v8
	v_fma_f32 v10, -v4, v9, v6
	v_fmac_f32_e32 v9, v10, v8
	v_fma_f32 v4, -v4, v9, v6
	v_div_fmas_f32 v4, v4, v8, v9
	v_div_fixup_f32 v6, v4, v3, s13
.LBB11_9:
	s_or_b64 exec, exec, s[4:5]
	s_add_u32 s0, s8, s0
	s_addc_u32 s1, s9, s1
	global_store_dwordx2 v7, v[1:2], s[0:1]
	global_store_dwordx2 v7, v[5:6], s[0:1] offset:2048
	s_mov_b64 s[0:1], 0
.LBB11_10:
	s_and_b64 vcc, exec, s[0:1]
	s_cbranch_vccz .LBB11_37
; %bb.11:
	v_cmp_gt_i32_e64 s[0:1], s12, v0
	v_mov_b32_e32 v7, 0
	v_or_b32_e32 v1, s2, v0
	v_mov_b32_e32 v8, 0
	v_mov_b32_e32 v3, v0
	s_and_saveexec_b64 s[4:5], s[0:1]
	s_cbranch_execz .LBB11_13
; %bb.12:
	v_mov_b32_e32 v2, 0
	v_lshlrev_b64 v[2:3], 2, v[1:2]
	v_mov_b32_e32 v4, s11
	v_add_co_u32_e32 v2, vcc, s10, v2
	v_addc_co_u32_e32 v3, vcc, v4, v3, vcc
	global_load_dword v8, v[2:3], off
	v_or_b32_e32 v3, 0x100, v0
.LBB11_13:
	s_or_b64 exec, exec, s[4:5]
	v_cmp_gt_i32_e32 vcc, s12, v3
	s_and_saveexec_b64 s[4:5], vcc
	s_cbranch_execz .LBB11_15
; %bb.14:
	v_add_u32_e32 v4, s2, v3
	v_mov_b32_e32 v5, 0
	v_lshlrev_b64 v[4:5], 2, v[4:5]
	v_mov_b32_e32 v2, s11
	v_add_co_u32_e32 v4, vcc, s10, v4
	v_addc_co_u32_e32 v5, vcc, v2, v5, vcc
	global_load_dword v7, v[4:5], off
	v_add_u32_e32 v3, 0x100, v3
.LBB11_15:
	s_or_b64 exec, exec, s[4:5]
	v_cmp_gt_i32_e32 vcc, s12, v3
	v_mov_b32_e32 v2, 0
	v_mov_b32_e32 v9, 0
	s_and_saveexec_b64 s[4:5], vcc
	s_cbranch_execz .LBB11_17
; %bb.16:
	v_add_u32_e32 v4, s2, v3
	v_mov_b32_e32 v5, 0
	v_lshlrev_b64 v[4:5], 2, v[4:5]
	v_mov_b32_e32 v6, s11
	v_add_co_u32_e32 v4, vcc, s10, v4
	v_addc_co_u32_e32 v5, vcc, v6, v5, vcc
	global_load_dword v9, v[4:5], off
	v_add_u32_e32 v3, 0x100, v3
.LBB11_17:
	s_or_b64 exec, exec, s[4:5]
	v_cmp_gt_i32_e32 vcc, s12, v3
	s_and_saveexec_b64 s[4:5], vcc
	s_cbranch_execz .LBB11_19
; %bb.18:
	v_add_u32_e32 v2, s2, v3
	v_mov_b32_e32 v3, 0
	v_lshlrev_b64 v[2:3], 2, v[2:3]
	v_mov_b32_e32 v4, s11
	v_add_co_u32_e32 v2, vcc, s10, v2
	v_addc_co_u32_e32 v3, vcc, v4, v3, vcc
	global_load_dword v2, v[2:3], off
.LBB11_19:
	s_or_b64 exec, exec, s[4:5]
	v_mov_b32_e32 v5, 0
	v_mov_b32_e32 v6, v5
	;; [unrolled: 1-line block ×4, first 2 shown]
	s_and_saveexec_b64 s[4:5], s[0:1]
	s_cbranch_execz .LBB11_23
; %bb.20:
	s_waitcnt vmcnt(0)
	v_cmp_lt_f32_e32 vcc, s13, v8
	v_mov_b32_e32 v5, 1.0
	s_and_saveexec_b64 s[6:7], vcc
	s_cbranch_execz .LBB11_22
; %bb.21:
	v_add_f32_e32 v3, 0x33d6bf95, v8
	v_div_scale_f32 v4, s[10:11], v3, v3, s13
	v_div_scale_f32 v5, vcc, s13, v3, s13
	v_rcp_f32_e32 v6, v4
	v_fma_f32 v8, -v4, v6, 1.0
	v_fmac_f32_e32 v6, v8, v6
	v_mul_f32_e32 v8, v5, v6
	v_fma_f32 v10, -v4, v8, v5
	v_fmac_f32_e32 v8, v10, v6
	v_fma_f32 v4, -v4, v8, v5
	v_div_fmas_f32 v4, v4, v6, v8
	v_div_fixup_f32 v5, v4, v3, s13
.LBB11_22:
	s_or_b64 exec, exec, s[6:7]
	v_mov_b32_e32 v6, 0
	v_mov_b32_e32 v4, v6
	;; [unrolled: 1-line block ×3, first 2 shown]
.LBB11_23:
	s_or_b64 exec, exec, s[4:5]
	s_waitcnt vmcnt(0)
	v_or_b32_e32 v8, 0x100, v0
	v_cmp_gt_i32_e32 vcc, s12, v8
	s_and_saveexec_b64 s[4:5], vcc
	s_cbranch_execz .LBB11_27
; %bb.24:
	v_cmp_lt_f32_e32 vcc, s13, v7
	v_mov_b32_e32 v6, 1.0
	s_and_saveexec_b64 s[6:7], vcc
	s_cbranch_execz .LBB11_26
; %bb.25:
	v_add_f32_e32 v6, 0x33d6bf95, v7
	v_div_scale_f32 v7, s[10:11], v6, v6, s13
	v_div_scale_f32 v10, vcc, s13, v6, s13
	v_rcp_f32_e32 v11, v7
	v_fma_f32 v12, -v7, v11, 1.0
	v_fmac_f32_e32 v11, v12, v11
	v_mul_f32_e32 v12, v10, v11
	v_fma_f32 v13, -v7, v12, v10
	v_fmac_f32_e32 v12, v13, v11
	v_fma_f32 v7, -v7, v12, v10
	v_div_fmas_f32 v7, v7, v11, v12
	v_div_fixup_f32 v6, v7, v6, s13
.LBB11_26:
	s_or_b64 exec, exec, s[6:7]
.LBB11_27:
	s_or_b64 exec, exec, s[4:5]
	v_or_b32_e32 v7, 0x200, v0
	v_cmp_gt_i32_e32 vcc, s12, v7
	s_and_saveexec_b64 s[4:5], vcc
	s_cbranch_execz .LBB11_31
; %bb.28:
	v_cmp_lt_f32_e32 vcc, s13, v9
	v_mov_b32_e32 v4, 1.0
	s_and_saveexec_b64 s[6:7], vcc
	s_cbranch_execz .LBB11_30
; %bb.29:
	v_add_f32_e32 v4, 0x33d6bf95, v9
	v_div_scale_f32 v7, s[10:11], v4, v4, s13
	v_div_scale_f32 v9, vcc, s13, v4, s13
	v_rcp_f32_e32 v10, v7
	v_fma_f32 v11, -v7, v10, 1.0
	v_fmac_f32_e32 v10, v11, v10
	v_mul_f32_e32 v11, v9, v10
	v_fma_f32 v12, -v7, v11, v9
	v_fmac_f32_e32 v11, v12, v10
	v_fma_f32 v7, -v7, v11, v9
	v_div_fmas_f32 v7, v7, v10, v11
	v_div_fixup_f32 v4, v7, v4, s13
.LBB11_30:
	s_or_b64 exec, exec, s[6:7]
.LBB11_31:
	s_or_b64 exec, exec, s[4:5]
	v_or_b32_e32 v7, 0x300, v0
	v_cmp_gt_i32_e32 vcc, s12, v7
	s_and_saveexec_b64 s[4:5], vcc
	s_cbranch_execnz .LBB11_38
; %bb.32:
	s_or_b64 exec, exec, s[4:5]
	s_and_saveexec_b64 s[4:5], s[0:1]
	s_xor_b64 s[0:1], exec, s[4:5]
	s_cbranch_execnz .LBB11_41
.LBB11_33:
	s_or_b64 exec, exec, s[0:1]
	v_cmp_gt_i32_e32 vcc, s12, v0
	s_and_saveexec_b64 s[0:1], vcc
	s_cbranch_execnz .LBB11_42
.LBB11_34:
	s_or_b64 exec, exec, s[0:1]
	v_cmp_gt_i32_e32 vcc, s12, v0
	s_and_saveexec_b64 s[0:1], vcc
	s_cbranch_execnz .LBB11_43
.LBB11_35:
	s_or_b64 exec, exec, s[0:1]
	v_cmp_gt_i32_e32 vcc, s12, v0
	s_and_saveexec_b64 s[0:1], vcc
	s_cbranch_execz .LBB11_37
.LBB11_36:
	v_add_u32_e32 v0, s2, v0
	v_mov_b32_e32 v1, 0
	v_lshlrev_b64 v[0:1], 2, v[0:1]
	v_mov_b32_e32 v2, s9
	v_add_co_u32_e32 v0, vcc, s8, v0
	v_addc_co_u32_e32 v1, vcc, v2, v1, vcc
	global_store_dword v[0:1], v3, off
.LBB11_37:
	s_endpgm
.LBB11_38:
	v_cmp_lt_f32_e32 vcc, s13, v2
	v_mov_b32_e32 v3, 1.0
	s_and_saveexec_b64 s[6:7], vcc
	s_cbranch_execz .LBB11_40
; %bb.39:
	v_add_f32_e32 v2, 0x33d6bf95, v2
	v_div_scale_f32 v3, s[10:11], v2, v2, s13
	v_div_scale_f32 v7, vcc, s13, v2, s13
	v_rcp_f32_e32 v9, v3
	v_fma_f32 v10, -v3, v9, 1.0
	v_fmac_f32_e32 v9, v10, v9
	v_mul_f32_e32 v10, v7, v9
	v_fma_f32 v11, -v3, v10, v7
	v_fmac_f32_e32 v10, v11, v9
	v_fma_f32 v3, -v3, v10, v7
	v_div_fmas_f32 v3, v3, v9, v10
	v_div_fixup_f32 v3, v3, v2, s13
.LBB11_40:
	s_or_b64 exec, exec, s[6:7]
	s_or_b64 exec, exec, s[4:5]
	s_and_saveexec_b64 s[4:5], s[0:1]
	s_xor_b64 s[0:1], exec, s[4:5]
	s_cbranch_execz .LBB11_33
.LBB11_41:
	v_mov_b32_e32 v2, 0
	v_lshlrev_b64 v[0:1], 2, v[1:2]
	v_mov_b32_e32 v2, s9
	v_add_co_u32_e32 v0, vcc, s8, v0
	v_addc_co_u32_e32 v1, vcc, v2, v1, vcc
	global_store_dword v[0:1], v5, off
	v_mov_b32_e32 v0, v8
	s_or_b64 exec, exec, s[0:1]
	v_cmp_gt_i32_e32 vcc, s12, v0
	s_and_saveexec_b64 s[0:1], vcc
	s_cbranch_execz .LBB11_34
.LBB11_42:
	v_add_u32_e32 v1, s2, v0
	v_mov_b32_e32 v2, 0
	v_lshlrev_b64 v[1:2], 2, v[1:2]
	v_mov_b32_e32 v5, s9
	v_add_co_u32_e32 v1, vcc, s8, v1
	v_addc_co_u32_e32 v2, vcc, v5, v2, vcc
	v_add_u32_e32 v0, 0x100, v0
	global_store_dword v[1:2], v6, off
	s_or_b64 exec, exec, s[0:1]
	v_cmp_gt_i32_e32 vcc, s12, v0
	s_and_saveexec_b64 s[0:1], vcc
	s_cbranch_execz .LBB11_35
.LBB11_43:
	v_add_u32_e32 v1, s2, v0
	v_mov_b32_e32 v2, 0
	v_lshlrev_b64 v[1:2], 2, v[1:2]
	v_mov_b32_e32 v5, s9
	v_add_co_u32_e32 v1, vcc, s8, v1
	v_addc_co_u32_e32 v2, vcc, v5, v2, vcc
	v_add_u32_e32 v0, 0x100, v0
	global_store_dword v[1:2], v4, off
	s_or_b64 exec, exec, s[0:1]
	v_cmp_gt_i32_e32 vcc, s12, v0
	s_and_saveexec_b64 s[0:1], vcc
	s_cbranch_execnz .LBB11_36
	s_branch .LBB11_37
	.section	.rodata,"a",@progbits
	.p2align	6, 0x0
	.amdhsa_kernel _ZN2at6native29vectorized_elementwise_kernelILi2EZZZNS0_12_GLOBAL__N_124renorm_scale_factor_implERNS_18TensorIteratorBaseEdENKUlvE_clEvENKUlvE0_clEvEUlfE_St5arrayIPcLm2EEEEviT0_T1_
		.amdhsa_group_segment_fixed_size 0
		.amdhsa_private_segment_fixed_size 0
		.amdhsa_kernarg_size 24
		.amdhsa_user_sgpr_count 6
		.amdhsa_user_sgpr_private_segment_buffer 1
		.amdhsa_user_sgpr_dispatch_ptr 0
		.amdhsa_user_sgpr_queue_ptr 0
		.amdhsa_user_sgpr_kernarg_segment_ptr 1
		.amdhsa_user_sgpr_dispatch_id 0
		.amdhsa_user_sgpr_flat_scratch_init 0
		.amdhsa_user_sgpr_private_segment_size 0
		.amdhsa_uses_dynamic_stack 0
		.amdhsa_system_sgpr_private_segment_wavefront_offset 0
		.amdhsa_system_sgpr_workgroup_id_x 1
		.amdhsa_system_sgpr_workgroup_id_y 0
		.amdhsa_system_sgpr_workgroup_id_z 0
		.amdhsa_system_sgpr_workgroup_info 0
		.amdhsa_system_vgpr_workitem_id 0
		.amdhsa_next_free_vgpr 14
		.amdhsa_next_free_sgpr 14
		.amdhsa_reserve_vcc 1
		.amdhsa_reserve_flat_scratch 0
		.amdhsa_float_round_mode_32 0
		.amdhsa_float_round_mode_16_64 0
		.amdhsa_float_denorm_mode_32 3
		.amdhsa_float_denorm_mode_16_64 3
		.amdhsa_dx10_clamp 1
		.amdhsa_ieee_mode 1
		.amdhsa_fp16_overflow 0
		.amdhsa_exception_fp_ieee_invalid_op 0
		.amdhsa_exception_fp_denorm_src 0
		.amdhsa_exception_fp_ieee_div_zero 0
		.amdhsa_exception_fp_ieee_overflow 0
		.amdhsa_exception_fp_ieee_underflow 0
		.amdhsa_exception_fp_ieee_inexact 0
		.amdhsa_exception_int_div_zero 0
	.end_amdhsa_kernel
	.section	.text._ZN2at6native29vectorized_elementwise_kernelILi2EZZZNS0_12_GLOBAL__N_124renorm_scale_factor_implERNS_18TensorIteratorBaseEdENKUlvE_clEvENKUlvE0_clEvEUlfE_St5arrayIPcLm2EEEEviT0_T1_,"axG",@progbits,_ZN2at6native29vectorized_elementwise_kernelILi2EZZZNS0_12_GLOBAL__N_124renorm_scale_factor_implERNS_18TensorIteratorBaseEdENKUlvE_clEvENKUlvE0_clEvEUlfE_St5arrayIPcLm2EEEEviT0_T1_,comdat
.Lfunc_end11:
	.size	_ZN2at6native29vectorized_elementwise_kernelILi2EZZZNS0_12_GLOBAL__N_124renorm_scale_factor_implERNS_18TensorIteratorBaseEdENKUlvE_clEvENKUlvE0_clEvEUlfE_St5arrayIPcLm2EEEEviT0_T1_, .Lfunc_end11-_ZN2at6native29vectorized_elementwise_kernelILi2EZZZNS0_12_GLOBAL__N_124renorm_scale_factor_implERNS_18TensorIteratorBaseEdENKUlvE_clEvENKUlvE0_clEvEUlfE_St5arrayIPcLm2EEEEviT0_T1_
                                        ; -- End function
	.set _ZN2at6native29vectorized_elementwise_kernelILi2EZZZNS0_12_GLOBAL__N_124renorm_scale_factor_implERNS_18TensorIteratorBaseEdENKUlvE_clEvENKUlvE0_clEvEUlfE_St5arrayIPcLm2EEEEviT0_T1_.num_vgpr, 14
	.set _ZN2at6native29vectorized_elementwise_kernelILi2EZZZNS0_12_GLOBAL__N_124renorm_scale_factor_implERNS_18TensorIteratorBaseEdENKUlvE_clEvENKUlvE0_clEvEUlfE_St5arrayIPcLm2EEEEviT0_T1_.num_agpr, 0
	.set _ZN2at6native29vectorized_elementwise_kernelILi2EZZZNS0_12_GLOBAL__N_124renorm_scale_factor_implERNS_18TensorIteratorBaseEdENKUlvE_clEvENKUlvE0_clEvEUlfE_St5arrayIPcLm2EEEEviT0_T1_.numbered_sgpr, 14
	.set _ZN2at6native29vectorized_elementwise_kernelILi2EZZZNS0_12_GLOBAL__N_124renorm_scale_factor_implERNS_18TensorIteratorBaseEdENKUlvE_clEvENKUlvE0_clEvEUlfE_St5arrayIPcLm2EEEEviT0_T1_.num_named_barrier, 0
	.set _ZN2at6native29vectorized_elementwise_kernelILi2EZZZNS0_12_GLOBAL__N_124renorm_scale_factor_implERNS_18TensorIteratorBaseEdENKUlvE_clEvENKUlvE0_clEvEUlfE_St5arrayIPcLm2EEEEviT0_T1_.private_seg_size, 0
	.set _ZN2at6native29vectorized_elementwise_kernelILi2EZZZNS0_12_GLOBAL__N_124renorm_scale_factor_implERNS_18TensorIteratorBaseEdENKUlvE_clEvENKUlvE0_clEvEUlfE_St5arrayIPcLm2EEEEviT0_T1_.uses_vcc, 1
	.set _ZN2at6native29vectorized_elementwise_kernelILi2EZZZNS0_12_GLOBAL__N_124renorm_scale_factor_implERNS_18TensorIteratorBaseEdENKUlvE_clEvENKUlvE0_clEvEUlfE_St5arrayIPcLm2EEEEviT0_T1_.uses_flat_scratch, 0
	.set _ZN2at6native29vectorized_elementwise_kernelILi2EZZZNS0_12_GLOBAL__N_124renorm_scale_factor_implERNS_18TensorIteratorBaseEdENKUlvE_clEvENKUlvE0_clEvEUlfE_St5arrayIPcLm2EEEEviT0_T1_.has_dyn_sized_stack, 0
	.set _ZN2at6native29vectorized_elementwise_kernelILi2EZZZNS0_12_GLOBAL__N_124renorm_scale_factor_implERNS_18TensorIteratorBaseEdENKUlvE_clEvENKUlvE0_clEvEUlfE_St5arrayIPcLm2EEEEviT0_T1_.has_recursion, 0
	.set _ZN2at6native29vectorized_elementwise_kernelILi2EZZZNS0_12_GLOBAL__N_124renorm_scale_factor_implERNS_18TensorIteratorBaseEdENKUlvE_clEvENKUlvE0_clEvEUlfE_St5arrayIPcLm2EEEEviT0_T1_.has_indirect_call, 0
	.section	.AMDGPU.csdata,"",@progbits
; Kernel info:
; codeLenInByte = 1588
; TotalNumSgprs: 18
; NumVgprs: 14
; ScratchSize: 0
; MemoryBound: 0
; FloatMode: 240
; IeeeMode: 1
; LDSByteSize: 0 bytes/workgroup (compile time only)
; SGPRBlocks: 2
; VGPRBlocks: 3
; NumSGPRsForWavesPerEU: 18
; NumVGPRsForWavesPerEU: 14
; Occupancy: 10
; WaveLimiterHint : 1
; COMPUTE_PGM_RSRC2:SCRATCH_EN: 0
; COMPUTE_PGM_RSRC2:USER_SGPR: 6
; COMPUTE_PGM_RSRC2:TRAP_HANDLER: 0
; COMPUTE_PGM_RSRC2:TGID_X_EN: 1
; COMPUTE_PGM_RSRC2:TGID_Y_EN: 0
; COMPUTE_PGM_RSRC2:TGID_Z_EN: 0
; COMPUTE_PGM_RSRC2:TIDIG_COMP_CNT: 0
	.section	.text._ZN2at6native27unrolled_elementwise_kernelIZZZNS0_12_GLOBAL__N_124renorm_scale_factor_implERNS_18TensorIteratorBaseEdENKUlvE_clEvENKUlvE0_clEvEUlfE_St5arrayIPcLm2EELi4E23TrivialOffsetCalculatorILi1EjESC_NS0_6memory15LoadWithoutCastENSD_16StoreWithoutCastEEEviT_T0_T2_T3_T4_T5_,"axG",@progbits,_ZN2at6native27unrolled_elementwise_kernelIZZZNS0_12_GLOBAL__N_124renorm_scale_factor_implERNS_18TensorIteratorBaseEdENKUlvE_clEvENKUlvE0_clEvEUlfE_St5arrayIPcLm2EELi4E23TrivialOffsetCalculatorILi1EjESC_NS0_6memory15LoadWithoutCastENSD_16StoreWithoutCastEEEviT_T0_T2_T3_T4_T5_,comdat
	.globl	_ZN2at6native27unrolled_elementwise_kernelIZZZNS0_12_GLOBAL__N_124renorm_scale_factor_implERNS_18TensorIteratorBaseEdENKUlvE_clEvENKUlvE0_clEvEUlfE_St5arrayIPcLm2EELi4E23TrivialOffsetCalculatorILi1EjESC_NS0_6memory15LoadWithoutCastENSD_16StoreWithoutCastEEEviT_T0_T2_T3_T4_T5_ ; -- Begin function _ZN2at6native27unrolled_elementwise_kernelIZZZNS0_12_GLOBAL__N_124renorm_scale_factor_implERNS_18TensorIteratorBaseEdENKUlvE_clEvENKUlvE0_clEvEUlfE_St5arrayIPcLm2EELi4E23TrivialOffsetCalculatorILi1EjESC_NS0_6memory15LoadWithoutCastENSD_16StoreWithoutCastEEEviT_T0_T2_T3_T4_T5_
	.p2align	8
	.type	_ZN2at6native27unrolled_elementwise_kernelIZZZNS0_12_GLOBAL__N_124renorm_scale_factor_implERNS_18TensorIteratorBaseEdENKUlvE_clEvENKUlvE0_clEvEUlfE_St5arrayIPcLm2EELi4E23TrivialOffsetCalculatorILi1EjESC_NS0_6memory15LoadWithoutCastENSD_16StoreWithoutCastEEEviT_T0_T2_T3_T4_T5_,@function
_ZN2at6native27unrolled_elementwise_kernelIZZZNS0_12_GLOBAL__N_124renorm_scale_factor_implERNS_18TensorIteratorBaseEdENKUlvE_clEvENKUlvE0_clEvEUlfE_St5arrayIPcLm2EELi4E23TrivialOffsetCalculatorILi1EjESC_NS0_6memory15LoadWithoutCastENSD_16StoreWithoutCastEEEviT_T0_T2_T3_T4_T5_: ; @_ZN2at6native27unrolled_elementwise_kernelIZZZNS0_12_GLOBAL__N_124renorm_scale_factor_implERNS_18TensorIteratorBaseEdENKUlvE_clEvENKUlvE0_clEvEUlfE_St5arrayIPcLm2EELi4E23TrivialOffsetCalculatorILi1EjESC_NS0_6memory15LoadWithoutCastENSD_16StoreWithoutCastEEEviT_T0_T2_T3_T4_T5_
; %bb.0:
	s_load_dwordx2 s[2:3], s[4:5], 0x0
	s_load_dwordx4 s[8:11], s[4:5], 0x8
	s_lshl_b32 s12, s6, 10
	v_mov_b32_e32 v7, 0
	v_or_b32_e32 v1, s12, v0
	s_waitcnt lgkmcnt(0)
	s_sub_i32 s2, s2, s12
	v_cmp_gt_i32_e64 s[0:1], s2, v0
	v_mov_b32_e32 v8, 0
	v_mov_b32_e32 v3, v0
	s_and_saveexec_b64 s[4:5], s[0:1]
	s_cbranch_execz .LBB12_2
; %bb.1:
	v_mov_b32_e32 v2, 0
	v_lshlrev_b64 v[2:3], 2, v[1:2]
	v_mov_b32_e32 v4, s11
	v_add_co_u32_e32 v2, vcc, s10, v2
	v_addc_co_u32_e32 v3, vcc, v4, v3, vcc
	global_load_dword v8, v[2:3], off
	v_or_b32_e32 v3, 0x100, v0
.LBB12_2:
	s_or_b64 exec, exec, s[4:5]
	v_cmp_gt_i32_e32 vcc, s2, v3
	s_and_saveexec_b64 s[4:5], vcc
	s_cbranch_execz .LBB12_4
; %bb.3:
	v_add_u32_e32 v4, s12, v3
	v_mov_b32_e32 v5, 0
	v_lshlrev_b64 v[4:5], 2, v[4:5]
	v_mov_b32_e32 v2, s11
	v_add_co_u32_e32 v4, vcc, s10, v4
	v_addc_co_u32_e32 v5, vcc, v2, v5, vcc
	global_load_dword v7, v[4:5], off
	v_add_u32_e32 v3, 0x100, v3
.LBB12_4:
	s_or_b64 exec, exec, s[4:5]
	v_cmp_gt_i32_e32 vcc, s2, v3
	v_mov_b32_e32 v2, 0
	v_mov_b32_e32 v9, 0
	s_and_saveexec_b64 s[4:5], vcc
	s_cbranch_execz .LBB12_6
; %bb.5:
	v_add_u32_e32 v4, s12, v3
	v_mov_b32_e32 v5, 0
	v_lshlrev_b64 v[4:5], 2, v[4:5]
	v_mov_b32_e32 v6, s11
	v_add_co_u32_e32 v4, vcc, s10, v4
	v_addc_co_u32_e32 v5, vcc, v6, v5, vcc
	global_load_dword v9, v[4:5], off
	v_add_u32_e32 v3, 0x100, v3
.LBB12_6:
	s_or_b64 exec, exec, s[4:5]
	v_cmp_gt_i32_e32 vcc, s2, v3
	s_and_saveexec_b64 s[4:5], vcc
	s_cbranch_execz .LBB12_8
; %bb.7:
	v_add_u32_e32 v2, s12, v3
	v_mov_b32_e32 v3, 0
	v_lshlrev_b64 v[2:3], 2, v[2:3]
	v_mov_b32_e32 v4, s11
	v_add_co_u32_e32 v2, vcc, s10, v2
	v_addc_co_u32_e32 v3, vcc, v4, v3, vcc
	global_load_dword v2, v[2:3], off
.LBB12_8:
	s_or_b64 exec, exec, s[4:5]
	v_mov_b32_e32 v5, 0
	v_mov_b32_e32 v6, v5
	;; [unrolled: 1-line block ×4, first 2 shown]
	s_and_saveexec_b64 s[4:5], s[0:1]
	s_cbranch_execz .LBB12_12
; %bb.9:
	s_waitcnt vmcnt(0)
	v_cmp_lt_f32_e32 vcc, s3, v8
	v_mov_b32_e32 v5, 1.0
	s_and_saveexec_b64 s[6:7], vcc
	s_cbranch_execz .LBB12_11
; %bb.10:
	v_add_f32_e32 v3, 0x33d6bf95, v8
	v_div_scale_f32 v4, s[10:11], v3, v3, s3
	v_div_scale_f32 v5, vcc, s3, v3, s3
	v_rcp_f32_e32 v6, v4
	v_fma_f32 v8, -v4, v6, 1.0
	v_fmac_f32_e32 v6, v8, v6
	v_mul_f32_e32 v8, v5, v6
	v_fma_f32 v10, -v4, v8, v5
	v_fmac_f32_e32 v8, v10, v6
	v_fma_f32 v4, -v4, v8, v5
	v_div_fmas_f32 v4, v4, v6, v8
	v_div_fixup_f32 v5, v4, v3, s3
.LBB12_11:
	s_or_b64 exec, exec, s[6:7]
	v_mov_b32_e32 v6, 0
	v_mov_b32_e32 v4, v6
	;; [unrolled: 1-line block ×3, first 2 shown]
.LBB12_12:
	s_or_b64 exec, exec, s[4:5]
	s_waitcnt vmcnt(0)
	v_or_b32_e32 v8, 0x100, v0
	v_cmp_gt_i32_e32 vcc, s2, v8
	s_and_saveexec_b64 s[4:5], vcc
	s_cbranch_execz .LBB12_16
; %bb.13:
	v_cmp_lt_f32_e32 vcc, s3, v7
	v_mov_b32_e32 v6, 1.0
	s_and_saveexec_b64 s[6:7], vcc
	s_cbranch_execz .LBB12_15
; %bb.14:
	v_add_f32_e32 v6, 0x33d6bf95, v7
	v_div_scale_f32 v7, s[10:11], v6, v6, s3
	v_div_scale_f32 v10, vcc, s3, v6, s3
	v_rcp_f32_e32 v11, v7
	v_fma_f32 v12, -v7, v11, 1.0
	v_fmac_f32_e32 v11, v12, v11
	v_mul_f32_e32 v12, v10, v11
	v_fma_f32 v13, -v7, v12, v10
	v_fmac_f32_e32 v12, v13, v11
	v_fma_f32 v7, -v7, v12, v10
	v_div_fmas_f32 v7, v7, v11, v12
	v_div_fixup_f32 v6, v7, v6, s3
.LBB12_15:
	s_or_b64 exec, exec, s[6:7]
.LBB12_16:
	s_or_b64 exec, exec, s[4:5]
	v_or_b32_e32 v7, 0x200, v0
	v_cmp_gt_i32_e32 vcc, s2, v7
	s_and_saveexec_b64 s[4:5], vcc
	s_cbranch_execz .LBB12_20
; %bb.17:
	v_cmp_lt_f32_e32 vcc, s3, v9
	v_mov_b32_e32 v4, 1.0
	s_and_saveexec_b64 s[6:7], vcc
	s_cbranch_execz .LBB12_19
; %bb.18:
	v_add_f32_e32 v4, 0x33d6bf95, v9
	v_div_scale_f32 v7, s[10:11], v4, v4, s3
	v_div_scale_f32 v9, vcc, s3, v4, s3
	v_rcp_f32_e32 v10, v7
	v_fma_f32 v11, -v7, v10, 1.0
	v_fmac_f32_e32 v10, v11, v10
	v_mul_f32_e32 v11, v9, v10
	v_fma_f32 v12, -v7, v11, v9
	v_fmac_f32_e32 v11, v12, v10
	v_fma_f32 v7, -v7, v11, v9
	v_div_fmas_f32 v7, v7, v10, v11
	v_div_fixup_f32 v4, v7, v4, s3
.LBB12_19:
	s_or_b64 exec, exec, s[6:7]
.LBB12_20:
	s_or_b64 exec, exec, s[4:5]
	v_or_b32_e32 v7, 0x300, v0
	v_cmp_gt_i32_e32 vcc, s2, v7
	s_and_saveexec_b64 s[4:5], vcc
	s_cbranch_execnz .LBB12_26
; %bb.21:
	s_or_b64 exec, exec, s[4:5]
	s_and_saveexec_b64 s[4:5], s[0:1]
	s_xor_b64 s[0:1], exec, s[4:5]
	s_cbranch_execnz .LBB12_29
.LBB12_22:
	s_or_b64 exec, exec, s[0:1]
	v_cmp_gt_i32_e32 vcc, s2, v0
	s_and_saveexec_b64 s[0:1], vcc
	s_cbranch_execnz .LBB12_30
.LBB12_23:
	s_or_b64 exec, exec, s[0:1]
	v_cmp_gt_i32_e32 vcc, s2, v0
	s_and_saveexec_b64 s[0:1], vcc
	s_cbranch_execnz .LBB12_31
.LBB12_24:
	s_or_b64 exec, exec, s[0:1]
	v_cmp_gt_i32_e32 vcc, s2, v0
	s_and_saveexec_b64 s[0:1], vcc
	s_cbranch_execnz .LBB12_32
.LBB12_25:
	s_endpgm
.LBB12_26:
	v_cmp_lt_f32_e32 vcc, s3, v2
	v_mov_b32_e32 v3, 1.0
	s_and_saveexec_b64 s[6:7], vcc
	s_cbranch_execz .LBB12_28
; %bb.27:
	v_add_f32_e32 v2, 0x33d6bf95, v2
	v_div_scale_f32 v3, s[10:11], v2, v2, s3
	v_div_scale_f32 v7, vcc, s3, v2, s3
	v_rcp_f32_e32 v9, v3
	v_fma_f32 v10, -v3, v9, 1.0
	v_fmac_f32_e32 v9, v10, v9
	v_mul_f32_e32 v10, v7, v9
	v_fma_f32 v11, -v3, v10, v7
	v_fmac_f32_e32 v10, v11, v9
	v_fma_f32 v3, -v3, v10, v7
	v_div_fmas_f32 v3, v3, v9, v10
	v_div_fixup_f32 v3, v3, v2, s3
.LBB12_28:
	s_or_b64 exec, exec, s[6:7]
	s_or_b64 exec, exec, s[4:5]
	s_and_saveexec_b64 s[4:5], s[0:1]
	s_xor_b64 s[0:1], exec, s[4:5]
	s_cbranch_execz .LBB12_22
.LBB12_29:
	v_mov_b32_e32 v2, 0
	v_lshlrev_b64 v[0:1], 2, v[1:2]
	v_mov_b32_e32 v2, s9
	v_add_co_u32_e32 v0, vcc, s8, v0
	v_addc_co_u32_e32 v1, vcc, v2, v1, vcc
	global_store_dword v[0:1], v5, off
	v_mov_b32_e32 v0, v8
	s_or_b64 exec, exec, s[0:1]
	v_cmp_gt_i32_e32 vcc, s2, v0
	s_and_saveexec_b64 s[0:1], vcc
	s_cbranch_execz .LBB12_23
.LBB12_30:
	v_add_u32_e32 v2, 0x100, v0
	v_add_u32_e32 v0, s12, v0
	v_mov_b32_e32 v1, 0
	v_lshlrev_b64 v[0:1], 2, v[0:1]
	v_mov_b32_e32 v5, s9
	v_add_co_u32_e32 v0, vcc, s8, v0
	v_addc_co_u32_e32 v1, vcc, v5, v1, vcc
	global_store_dword v[0:1], v6, off
	v_mov_b32_e32 v0, v2
	s_or_b64 exec, exec, s[0:1]
	v_cmp_gt_i32_e32 vcc, s2, v0
	s_and_saveexec_b64 s[0:1], vcc
	s_cbranch_execz .LBB12_24
.LBB12_31:
	v_add_u32_e32 v2, 0x100, v0
	v_add_u32_e32 v0, s12, v0
	v_mov_b32_e32 v1, 0
	v_lshlrev_b64 v[0:1], 2, v[0:1]
	v_mov_b32_e32 v5, s9
	v_add_co_u32_e32 v0, vcc, s8, v0
	v_addc_co_u32_e32 v1, vcc, v5, v1, vcc
	global_store_dword v[0:1], v4, off
	v_mov_b32_e32 v0, v2
	s_or_b64 exec, exec, s[0:1]
	v_cmp_gt_i32_e32 vcc, s2, v0
	s_and_saveexec_b64 s[0:1], vcc
	s_cbranch_execz .LBB12_25
.LBB12_32:
	v_add_u32_e32 v0, s12, v0
	v_mov_b32_e32 v1, 0
	v_lshlrev_b64 v[0:1], 2, v[0:1]
	v_mov_b32_e32 v2, s9
	v_add_co_u32_e32 v0, vcc, s8, v0
	v_addc_co_u32_e32 v1, vcc, v2, v1, vcc
	global_store_dword v[0:1], v3, off
	s_endpgm
	.section	.rodata,"a",@progbits
	.p2align	6, 0x0
	.amdhsa_kernel _ZN2at6native27unrolled_elementwise_kernelIZZZNS0_12_GLOBAL__N_124renorm_scale_factor_implERNS_18TensorIteratorBaseEdENKUlvE_clEvENKUlvE0_clEvEUlfE_St5arrayIPcLm2EELi4E23TrivialOffsetCalculatorILi1EjESC_NS0_6memory15LoadWithoutCastENSD_16StoreWithoutCastEEEviT_T0_T2_T3_T4_T5_
		.amdhsa_group_segment_fixed_size 0
		.amdhsa_private_segment_fixed_size 0
		.amdhsa_kernarg_size 28
		.amdhsa_user_sgpr_count 6
		.amdhsa_user_sgpr_private_segment_buffer 1
		.amdhsa_user_sgpr_dispatch_ptr 0
		.amdhsa_user_sgpr_queue_ptr 0
		.amdhsa_user_sgpr_kernarg_segment_ptr 1
		.amdhsa_user_sgpr_dispatch_id 0
		.amdhsa_user_sgpr_flat_scratch_init 0
		.amdhsa_user_sgpr_private_segment_size 0
		.amdhsa_uses_dynamic_stack 0
		.amdhsa_system_sgpr_private_segment_wavefront_offset 0
		.amdhsa_system_sgpr_workgroup_id_x 1
		.amdhsa_system_sgpr_workgroup_id_y 0
		.amdhsa_system_sgpr_workgroup_id_z 0
		.amdhsa_system_sgpr_workgroup_info 0
		.amdhsa_system_vgpr_workitem_id 0
		.amdhsa_next_free_vgpr 14
		.amdhsa_next_free_sgpr 13
		.amdhsa_reserve_vcc 1
		.amdhsa_reserve_flat_scratch 0
		.amdhsa_float_round_mode_32 0
		.amdhsa_float_round_mode_16_64 0
		.amdhsa_float_denorm_mode_32 3
		.amdhsa_float_denorm_mode_16_64 3
		.amdhsa_dx10_clamp 1
		.amdhsa_ieee_mode 1
		.amdhsa_fp16_overflow 0
		.amdhsa_exception_fp_ieee_invalid_op 0
		.amdhsa_exception_fp_denorm_src 0
		.amdhsa_exception_fp_ieee_div_zero 0
		.amdhsa_exception_fp_ieee_overflow 0
		.amdhsa_exception_fp_ieee_underflow 0
		.amdhsa_exception_fp_ieee_inexact 0
		.amdhsa_exception_int_div_zero 0
	.end_amdhsa_kernel
	.section	.text._ZN2at6native27unrolled_elementwise_kernelIZZZNS0_12_GLOBAL__N_124renorm_scale_factor_implERNS_18TensorIteratorBaseEdENKUlvE_clEvENKUlvE0_clEvEUlfE_St5arrayIPcLm2EELi4E23TrivialOffsetCalculatorILi1EjESC_NS0_6memory15LoadWithoutCastENSD_16StoreWithoutCastEEEviT_T0_T2_T3_T4_T5_,"axG",@progbits,_ZN2at6native27unrolled_elementwise_kernelIZZZNS0_12_GLOBAL__N_124renorm_scale_factor_implERNS_18TensorIteratorBaseEdENKUlvE_clEvENKUlvE0_clEvEUlfE_St5arrayIPcLm2EELi4E23TrivialOffsetCalculatorILi1EjESC_NS0_6memory15LoadWithoutCastENSD_16StoreWithoutCastEEEviT_T0_T2_T3_T4_T5_,comdat
.Lfunc_end12:
	.size	_ZN2at6native27unrolled_elementwise_kernelIZZZNS0_12_GLOBAL__N_124renorm_scale_factor_implERNS_18TensorIteratorBaseEdENKUlvE_clEvENKUlvE0_clEvEUlfE_St5arrayIPcLm2EELi4E23TrivialOffsetCalculatorILi1EjESC_NS0_6memory15LoadWithoutCastENSD_16StoreWithoutCastEEEviT_T0_T2_T3_T4_T5_, .Lfunc_end12-_ZN2at6native27unrolled_elementwise_kernelIZZZNS0_12_GLOBAL__N_124renorm_scale_factor_implERNS_18TensorIteratorBaseEdENKUlvE_clEvENKUlvE0_clEvEUlfE_St5arrayIPcLm2EELi4E23TrivialOffsetCalculatorILi1EjESC_NS0_6memory15LoadWithoutCastENSD_16StoreWithoutCastEEEviT_T0_T2_T3_T4_T5_
                                        ; -- End function
	.set _ZN2at6native27unrolled_elementwise_kernelIZZZNS0_12_GLOBAL__N_124renorm_scale_factor_implERNS_18TensorIteratorBaseEdENKUlvE_clEvENKUlvE0_clEvEUlfE_St5arrayIPcLm2EELi4E23TrivialOffsetCalculatorILi1EjESC_NS0_6memory15LoadWithoutCastENSD_16StoreWithoutCastEEEviT_T0_T2_T3_T4_T5_.num_vgpr, 14
	.set _ZN2at6native27unrolled_elementwise_kernelIZZZNS0_12_GLOBAL__N_124renorm_scale_factor_implERNS_18TensorIteratorBaseEdENKUlvE_clEvENKUlvE0_clEvEUlfE_St5arrayIPcLm2EELi4E23TrivialOffsetCalculatorILi1EjESC_NS0_6memory15LoadWithoutCastENSD_16StoreWithoutCastEEEviT_T0_T2_T3_T4_T5_.num_agpr, 0
	.set _ZN2at6native27unrolled_elementwise_kernelIZZZNS0_12_GLOBAL__N_124renorm_scale_factor_implERNS_18TensorIteratorBaseEdENKUlvE_clEvENKUlvE0_clEvEUlfE_St5arrayIPcLm2EELi4E23TrivialOffsetCalculatorILi1EjESC_NS0_6memory15LoadWithoutCastENSD_16StoreWithoutCastEEEviT_T0_T2_T3_T4_T5_.numbered_sgpr, 13
	.set _ZN2at6native27unrolled_elementwise_kernelIZZZNS0_12_GLOBAL__N_124renorm_scale_factor_implERNS_18TensorIteratorBaseEdENKUlvE_clEvENKUlvE0_clEvEUlfE_St5arrayIPcLm2EELi4E23TrivialOffsetCalculatorILi1EjESC_NS0_6memory15LoadWithoutCastENSD_16StoreWithoutCastEEEviT_T0_T2_T3_T4_T5_.num_named_barrier, 0
	.set _ZN2at6native27unrolled_elementwise_kernelIZZZNS0_12_GLOBAL__N_124renorm_scale_factor_implERNS_18TensorIteratorBaseEdENKUlvE_clEvENKUlvE0_clEvEUlfE_St5arrayIPcLm2EELi4E23TrivialOffsetCalculatorILi1EjESC_NS0_6memory15LoadWithoutCastENSD_16StoreWithoutCastEEEviT_T0_T2_T3_T4_T5_.private_seg_size, 0
	.set _ZN2at6native27unrolled_elementwise_kernelIZZZNS0_12_GLOBAL__N_124renorm_scale_factor_implERNS_18TensorIteratorBaseEdENKUlvE_clEvENKUlvE0_clEvEUlfE_St5arrayIPcLm2EELi4E23TrivialOffsetCalculatorILi1EjESC_NS0_6memory15LoadWithoutCastENSD_16StoreWithoutCastEEEviT_T0_T2_T3_T4_T5_.uses_vcc, 1
	.set _ZN2at6native27unrolled_elementwise_kernelIZZZNS0_12_GLOBAL__N_124renorm_scale_factor_implERNS_18TensorIteratorBaseEdENKUlvE_clEvENKUlvE0_clEvEUlfE_St5arrayIPcLm2EELi4E23TrivialOffsetCalculatorILi1EjESC_NS0_6memory15LoadWithoutCastENSD_16StoreWithoutCastEEEviT_T0_T2_T3_T4_T5_.uses_flat_scratch, 0
	.set _ZN2at6native27unrolled_elementwise_kernelIZZZNS0_12_GLOBAL__N_124renorm_scale_factor_implERNS_18TensorIteratorBaseEdENKUlvE_clEvENKUlvE0_clEvEUlfE_St5arrayIPcLm2EELi4E23TrivialOffsetCalculatorILi1EjESC_NS0_6memory15LoadWithoutCastENSD_16StoreWithoutCastEEEviT_T0_T2_T3_T4_T5_.has_dyn_sized_stack, 0
	.set _ZN2at6native27unrolled_elementwise_kernelIZZZNS0_12_GLOBAL__N_124renorm_scale_factor_implERNS_18TensorIteratorBaseEdENKUlvE_clEvENKUlvE0_clEvEUlfE_St5arrayIPcLm2EELi4E23TrivialOffsetCalculatorILi1EjESC_NS0_6memory15LoadWithoutCastENSD_16StoreWithoutCastEEEviT_T0_T2_T3_T4_T5_.has_recursion, 0
	.set _ZN2at6native27unrolled_elementwise_kernelIZZZNS0_12_GLOBAL__N_124renorm_scale_factor_implERNS_18TensorIteratorBaseEdENKUlvE_clEvENKUlvE0_clEvEUlfE_St5arrayIPcLm2EELi4E23TrivialOffsetCalculatorILi1EjESC_NS0_6memory15LoadWithoutCastENSD_16StoreWithoutCastEEEviT_T0_T2_T3_T4_T5_.has_indirect_call, 0
	.section	.AMDGPU.csdata,"",@progbits
; Kernel info:
; codeLenInByte = 1104
; TotalNumSgprs: 17
; NumVgprs: 14
; ScratchSize: 0
; MemoryBound: 0
; FloatMode: 240
; IeeeMode: 1
; LDSByteSize: 0 bytes/workgroup (compile time only)
; SGPRBlocks: 2
; VGPRBlocks: 3
; NumSGPRsForWavesPerEU: 17
; NumVGPRsForWavesPerEU: 14
; Occupancy: 10
; WaveLimiterHint : 0
; COMPUTE_PGM_RSRC2:SCRATCH_EN: 0
; COMPUTE_PGM_RSRC2:USER_SGPR: 6
; COMPUTE_PGM_RSRC2:TRAP_HANDLER: 0
; COMPUTE_PGM_RSRC2:TGID_X_EN: 1
; COMPUTE_PGM_RSRC2:TGID_Y_EN: 0
; COMPUTE_PGM_RSRC2:TGID_Z_EN: 0
; COMPUTE_PGM_RSRC2:TIDIG_COMP_CNT: 0
	.section	.text._ZN2at6native32elementwise_kernel_manual_unrollILi128ELi4EZNS0_22gpu_kernel_impl_nocastIZZZNS0_12_GLOBAL__N_124renorm_scale_factor_implERNS_18TensorIteratorBaseEdENKUlvE_clEvENKUlvE0_clEvEUlfE_EEvS5_RKT_EUlibE_EEviT1_,"axG",@progbits,_ZN2at6native32elementwise_kernel_manual_unrollILi128ELi4EZNS0_22gpu_kernel_impl_nocastIZZZNS0_12_GLOBAL__N_124renorm_scale_factor_implERNS_18TensorIteratorBaseEdENKUlvE_clEvENKUlvE0_clEvEUlfE_EEvS5_RKT_EUlibE_EEviT1_,comdat
	.globl	_ZN2at6native32elementwise_kernel_manual_unrollILi128ELi4EZNS0_22gpu_kernel_impl_nocastIZZZNS0_12_GLOBAL__N_124renorm_scale_factor_implERNS_18TensorIteratorBaseEdENKUlvE_clEvENKUlvE0_clEvEUlfE_EEvS5_RKT_EUlibE_EEviT1_ ; -- Begin function _ZN2at6native32elementwise_kernel_manual_unrollILi128ELi4EZNS0_22gpu_kernel_impl_nocastIZZZNS0_12_GLOBAL__N_124renorm_scale_factor_implERNS_18TensorIteratorBaseEdENKUlvE_clEvENKUlvE0_clEvEUlfE_EEvS5_RKT_EUlibE_EEviT1_
	.p2align	8
	.type	_ZN2at6native32elementwise_kernel_manual_unrollILi128ELi4EZNS0_22gpu_kernel_impl_nocastIZZZNS0_12_GLOBAL__N_124renorm_scale_factor_implERNS_18TensorIteratorBaseEdENKUlvE_clEvENKUlvE0_clEvEUlfE_EEvS5_RKT_EUlibE_EEviT1_,@function
_ZN2at6native32elementwise_kernel_manual_unrollILi128ELi4EZNS0_22gpu_kernel_impl_nocastIZZZNS0_12_GLOBAL__N_124renorm_scale_factor_implERNS_18TensorIteratorBaseEdENKUlvE_clEvENKUlvE0_clEvEUlfE_EEvS5_RKT_EUlibE_EEviT1_: ; @_ZN2at6native32elementwise_kernel_manual_unrollILi128ELi4EZNS0_22gpu_kernel_impl_nocastIZZZNS0_12_GLOBAL__N_124renorm_scale_factor_implERNS_18TensorIteratorBaseEdENKUlvE_clEvENKUlvE0_clEvEUlfE_EEvS5_RKT_EUlibE_EEviT1_
; %bb.0:
	s_load_dword s56, s[4:5], 0x0
	s_load_dword s33, s[4:5], 0x8
	s_add_u32 s34, s4, 8
	s_addc_u32 s35, s5, 0
	v_lshl_or_b32 v7, s6, 9, v0
	v_or_b32_e32 v13, 0x180, v7
	s_waitcnt lgkmcnt(0)
	s_add_i32 s54, s33, -1
	s_cmp_gt_u32 s54, 1
	v_cmp_le_i32_e32 vcc, s56, v13
	s_cselect_b64 s[36:37], -1, 0
	s_and_saveexec_b64 s[0:1], vcc
	s_xor_b64 s[38:39], exec, s[0:1]
	s_cbranch_execz .LBB13_7
; %bb.1:
	s_load_dwordx4 s[24:27], s[34:35], 0x4
	s_load_dwordx2 s[40:41], s[34:35], 0x14
	s_load_dwordx4 s[20:23], s[34:35], 0xc4
	s_load_dwordx4 s[16:19], s[34:35], 0x148
	s_load_dword s55, s[34:35], 0x158
	s_cmp_lg_u32 s33, 0
	s_cselect_b64 s[46:47], -1, 0
	s_add_u32 s44, s34, 0xc4
	s_addc_u32 s45, s35, 0
	s_min_u32 s57, s54, 15
	s_cmp_gt_u32 s33, 1
	s_cselect_b64 s[42:43], -1, 0
	v_cmp_gt_i32_e32 vcc, s56, v7
	s_and_saveexec_b64 s[48:49], vcc
	s_cbranch_execz .LBB13_14
; %bb.2:
	s_andn2_b64 vcc, exec, s[36:37]
	s_cbranch_vccnz .LBB13_21
; %bb.3:
	s_andn2_b64 vcc, exec, s[46:47]
	s_cbranch_vccnz .LBB13_81
; %bb.4:
	s_add_i32 s59, s57, 1
	s_cmp_eq_u32 s54, 2
	s_cbranch_scc1 .LBB13_83
; %bb.5:
	s_and_b32 s58, s59, 28
	v_mov_b32_e32 v2, 0
	s_mov_b32 s60, 0
	s_mov_b64 s[50:51], s[34:35]
	s_mov_b64 s[52:53], s[44:45]
	v_mov_b32_e32 v0, 0
	v_mov_b32_e32 v1, v7
.LBB13_6:                               ; =>This Inner Loop Header: Depth=1
	s_load_dwordx8 s[8:15], s[50:51], 0x4
	s_load_dwordx4 s[28:31], s[50:51], 0x24
	s_load_dwordx8 s[0:7], s[52:53], 0x0
	s_add_u32 s50, s50, 48
	s_addc_u32 s51, s51, 0
	s_waitcnt lgkmcnt(0)
	v_mul_hi_u32 v3, s9, v1
	s_add_i32 s60, s60, 4
	s_add_u32 s52, s52, 32
	s_addc_u32 s53, s53, 0
	v_add_u32_e32 v3, v1, v3
	v_lshrrev_b32_e32 v3, s10, v3
	v_mul_lo_u32 v4, v3, s8
	v_mul_hi_u32 v5, s12, v3
	s_cmp_lg_u32 s58, s60
	v_sub_u32_e32 v1, v1, v4
	v_add_u32_e32 v4, v3, v5
	v_mul_lo_u32 v5, v1, s0
	v_mul_lo_u32 v6, v1, s1
	v_lshrrev_b32_e32 v1, s13, v4
	v_mul_lo_u32 v4, v1, s11
	v_mul_hi_u32 v8, s15, v1
	v_sub_u32_e32 v3, v3, v4
	v_add_u32_e32 v4, v1, v8
	v_lshrrev_b32_e32 v4, s28, v4
	v_mul_hi_u32 v9, s30, v4
	v_mul_lo_u32 v10, v4, s14
	v_mul_lo_u32 v8, v3, s2
	;; [unrolled: 1-line block ×3, first 2 shown]
	v_sub_u32_e32 v10, v1, v10
	v_add_u32_e32 v1, v4, v9
	v_lshrrev_b32_e32 v1, s31, v1
	v_mul_lo_u32 v9, v1, s29
	v_mul_lo_u32 v11, v10, s4
	;; [unrolled: 1-line block ×3, first 2 shown]
	v_add3_u32 v0, v5, v0, v8
	v_sub_u32_e32 v4, v4, v9
	v_mul_lo_u32 v9, v4, s6
	v_mul_lo_u32 v4, v4, s7
	v_add3_u32 v2, v6, v2, v3
	v_add3_u32 v0, v11, v0, v9
	;; [unrolled: 1-line block ×3, first 2 shown]
	s_cbranch_scc1 .LBB13_6
	s_branch .LBB13_84
.LBB13_7:
	s_andn2_saveexec_b64 s[0:1], s[38:39]
	s_cbranch_execz .LBB13_113
.LBB13_8:
	v_cndmask_b32_e64 v0, 0, 1, s[36:37]
	v_cmp_ne_u32_e64 s[0:1], 1, v0
	s_andn2_b64 vcc, exec, s[36:37]
	s_cbranch_vccnz .LBB13_20
; %bb.9:
	s_cmp_lg_u32 s33, 0
	s_waitcnt lgkmcnt(0)
	s_mov_b32 s26, 0
	s_cbranch_scc0 .LBB13_23
; %bb.10:
	s_min_u32 s27, s54, 15
	s_add_i32 s27, s27, 1
	s_cmp_eq_u32 s54, 2
	s_cbranch_scc1 .LBB13_24
; %bb.11:
	s_and_b32 s26, s27, 28
	s_add_u32 s2, s34, 0xc4
	s_addc_u32 s3, s35, 0
	v_mov_b32_e32 v2, 0
	s_mov_b32 s28, 0
	s_mov_b64 s[24:25], s[34:35]
	v_mov_b32_e32 v0, 0
	v_mov_b32_e32 v1, v7
.LBB13_12:                              ; =>This Inner Loop Header: Depth=1
	s_load_dwordx8 s[12:19], s[24:25], 0x4
	s_load_dwordx4 s[20:23], s[24:25], 0x24
	s_load_dwordx8 s[4:11], s[2:3], 0x0
	s_add_u32 s24, s24, 48
	s_addc_u32 s25, s25, 0
	s_waitcnt lgkmcnt(0)
	v_mul_hi_u32 v3, s13, v1
	s_add_i32 s28, s28, 4
	s_add_u32 s2, s2, 32
	s_addc_u32 s3, s3, 0
	v_add_u32_e32 v3, v1, v3
	v_lshrrev_b32_e32 v3, s14, v3
	v_mul_lo_u32 v4, v3, s12
	v_mul_hi_u32 v5, s16, v3
	s_cmp_lg_u32 s26, s28
	v_sub_u32_e32 v1, v1, v4
	v_add_u32_e32 v4, v3, v5
	v_mul_lo_u32 v5, v1, s4
	v_mul_lo_u32 v6, v1, s5
	v_lshrrev_b32_e32 v1, s17, v4
	v_mul_lo_u32 v4, v1, s15
	v_mul_hi_u32 v8, s19, v1
	v_sub_u32_e32 v3, v3, v4
	v_add_u32_e32 v4, v1, v8
	v_lshrrev_b32_e32 v4, s20, v4
	v_mul_hi_u32 v9, s22, v4
	v_mul_lo_u32 v10, v4, s18
	v_mul_lo_u32 v8, v3, s6
	;; [unrolled: 1-line block ×3, first 2 shown]
	v_sub_u32_e32 v10, v1, v10
	v_add_u32_e32 v1, v4, v9
	v_lshrrev_b32_e32 v1, s23, v1
	v_mul_lo_u32 v9, v1, s21
	v_mul_lo_u32 v11, v10, s8
	;; [unrolled: 1-line block ×3, first 2 shown]
	v_add3_u32 v0, v5, v0, v8
	v_sub_u32_e32 v4, v4, v9
	v_mul_lo_u32 v9, v4, s10
	v_mul_lo_u32 v4, v4, s11
	v_add3_u32 v2, v6, v2, v3
	v_add3_u32 v0, v11, v0, v9
	;; [unrolled: 1-line block ×3, first 2 shown]
	s_cbranch_scc1 .LBB13_12
; %bb.13:
	s_and_b32 s6, s27, 3
	s_cmp_eq_u32 s6, 0
	s_cbranch_scc0 .LBB13_25
	s_branch .LBB13_27
.LBB13_14:
	s_or_b64 exec, exec, s[48:49]
	v_cmp_gt_i32_e32 vcc, s56, v7
	s_and_saveexec_b64 s[48:49], vcc
	s_cbranch_execz .LBB13_93
.LBB13_15:
	s_andn2_b64 vcc, exec, s[36:37]
	s_cbranch_vccnz .LBB13_22
; %bb.16:
	s_andn2_b64 vcc, exec, s[46:47]
	s_cbranch_vccnz .LBB13_82
; %bb.17:
	s_add_i32 s59, s57, 1
	s_cmp_eq_u32 s54, 2
	s_cbranch_scc1 .LBB13_101
; %bb.18:
	s_and_b32 s58, s59, 28
	v_mov_b32_e32 v2, 0
	s_mov_b32 s60, 0
	s_mov_b64 s[50:51], s[34:35]
	s_mov_b64 s[52:53], s[44:45]
	v_mov_b32_e32 v0, 0
	v_mov_b32_e32 v1, v7
.LBB13_19:                              ; =>This Inner Loop Header: Depth=1
	s_load_dwordx8 s[8:15], s[50:51], 0x4
	s_load_dwordx4 s[28:31], s[50:51], 0x24
	s_load_dwordx8 s[0:7], s[52:53], 0x0
	s_add_u32 s50, s50, 48
	s_addc_u32 s51, s51, 0
	s_waitcnt lgkmcnt(0)
	v_mul_hi_u32 v3, s9, v1
	s_add_i32 s60, s60, 4
	s_add_u32 s52, s52, 32
	s_addc_u32 s53, s53, 0
	v_add_u32_e32 v3, v1, v3
	v_lshrrev_b32_e32 v3, s10, v3
	v_mul_lo_u32 v4, v3, s8
	v_mul_hi_u32 v5, s12, v3
	s_cmp_eq_u32 s58, s60
	v_sub_u32_e32 v1, v1, v4
	v_add_u32_e32 v4, v3, v5
	v_mul_lo_u32 v5, v1, s0
	v_mul_lo_u32 v6, v1, s1
	v_lshrrev_b32_e32 v1, s13, v4
	v_mul_lo_u32 v4, v1, s11
	v_mul_hi_u32 v8, s15, v1
	v_sub_u32_e32 v3, v3, v4
	v_add_u32_e32 v4, v1, v8
	v_lshrrev_b32_e32 v4, s28, v4
	v_mul_hi_u32 v9, s30, v4
	v_mul_lo_u32 v10, v4, s14
	v_mul_lo_u32 v8, v3, s2
	;; [unrolled: 1-line block ×3, first 2 shown]
	v_sub_u32_e32 v10, v1, v10
	v_add_u32_e32 v1, v4, v9
	v_lshrrev_b32_e32 v1, s31, v1
	v_mul_lo_u32 v9, v1, s29
	v_mul_lo_u32 v11, v10, s4
	;; [unrolled: 1-line block ×3, first 2 shown]
	v_add3_u32 v0, v5, v0, v8
	v_sub_u32_e32 v4, v4, v9
	v_mul_lo_u32 v9, v4, s6
	v_mul_lo_u32 v4, v4, s7
	v_add3_u32 v2, v6, v2, v3
	v_add3_u32 v0, v11, v0, v9
	;; [unrolled: 1-line block ×3, first 2 shown]
	s_cbranch_scc0 .LBB13_19
	s_branch .LBB13_102
.LBB13_20:
                                        ; implicit-def: $vgpr0
                                        ; implicit-def: $vgpr2
	s_branch .LBB13_28
.LBB13_21:
                                        ; implicit-def: $vgpr0
                                        ; implicit-def: $vgpr2
	s_branch .LBB13_88
.LBB13_22:
                                        ; implicit-def: $vgpr0
                                        ; implicit-def: $vgpr2
	s_branch .LBB13_106
.LBB13_23:
	v_mov_b32_e32 v0, 0
	v_mov_b32_e32 v2, 0
	s_branch .LBB13_27
.LBB13_24:
	v_mov_b32_e32 v0, 0
	v_mov_b32_e32 v2, 0
	v_mov_b32_e32 v1, v7
	s_and_b32 s6, s27, 3
	s_cmp_eq_u32 s6, 0
	s_cbranch_scc1 .LBB13_27
.LBB13_25:
	s_lshl_b32 s2, s26, 3
	s_add_u32 s2, s34, s2
	s_addc_u32 s3, s35, 0
	s_add_u32 s2, s2, 0xc4
	s_addc_u32 s3, s3, 0
	s_mul_i32 s4, s26, 12
	s_add_u32 s4, s34, s4
	s_addc_u32 s5, s35, 0
.LBB13_26:                              ; =>This Inner Loop Header: Depth=1
	s_load_dwordx2 s[8:9], s[4:5], 0x4
	s_load_dword s7, s[4:5], 0xc
	s_load_dwordx2 s[10:11], s[2:3], 0x0
	s_add_u32 s4, s4, 12
	s_addc_u32 s5, s5, 0
	s_waitcnt lgkmcnt(0)
	v_mul_hi_u32 v3, s9, v1
	s_add_u32 s2, s2, 8
	s_addc_u32 s3, s3, 0
	s_add_i32 s6, s6, -1
	v_add_u32_e32 v3, v1, v3
	v_lshrrev_b32_e32 v4, s7, v3
	v_mul_lo_u32 v3, v4, s8
	s_cmp_lg_u32 s6, 0
	v_sub_u32_e32 v3, v1, v3
	v_mad_u64_u32 v[0:1], s[8:9], v3, s10, v[0:1]
	v_mad_u64_u32 v[2:3], s[8:9], v3, s11, v[2:3]
	v_mov_b32_e32 v1, v4
	s_cbranch_scc1 .LBB13_26
.LBB13_27:
	s_cbranch_execnz .LBB13_30
.LBB13_28:
	s_load_dwordx4 s[4:7], s[34:35], 0x4
	s_load_dwordx2 s[2:3], s[34:35], 0xc4
	s_cmp_lt_u32 s33, 2
	s_waitcnt lgkmcnt(0)
	v_mul_hi_u32 v0, s5, v7
	v_add_u32_e32 v0, v7, v0
	v_lshrrev_b32_e32 v1, s6, v0
	v_mul_lo_u32 v0, v1, s4
	v_sub_u32_e32 v2, v7, v0
	v_mul_lo_u32 v0, v2, s2
	v_mul_lo_u32 v2, v2, s3
	s_cbranch_scc1 .LBB13_30
; %bb.29:
	s_load_dwordx4 s[4:7], s[34:35], 0x10
	s_load_dwordx2 s[2:3], s[34:35], 0xcc
	s_waitcnt lgkmcnt(0)
	v_mul_hi_u32 v3, s5, v1
	v_add_u32_e32 v3, v1, v3
	v_lshrrev_b32_e32 v3, s6, v3
	v_mul_lo_u32 v3, v3, s4
	v_sub_u32_e32 v3, v1, v3
	v_mad_u64_u32 v[0:1], s[4:5], v3, s2, v[0:1]
	v_mad_u64_u32 v[2:3], s[2:3], v3, s3, v[2:3]
.LBB13_30:
	s_and_b64 vcc, exec, s[0:1]
	v_add_u32_e32 v1, 0x80, v7
	s_cbranch_vccnz .LBB13_36
; %bb.31:
	s_cmp_lg_u32 s33, 0
	s_waitcnt lgkmcnt(0)
	s_mov_b32 s26, 0
	s_cbranch_scc0 .LBB13_37
; %bb.32:
	s_min_u32 s27, s54, 15
	s_add_i32 s27, s27, 1
	s_cmp_eq_u32 s54, 2
	s_cbranch_scc1 .LBB13_38
; %bb.33:
	s_and_b32 s26, s27, 28
	s_add_u32 s2, s34, 0xc4
	s_addc_u32 s3, s35, 0
	v_mov_b32_e32 v5, 0
	s_mov_b32 s28, 0
	s_mov_b64 s[24:25], s[34:35]
	v_mov_b32_e32 v3, 0
	v_mov_b32_e32 v4, v1
.LBB13_34:                              ; =>This Inner Loop Header: Depth=1
	s_load_dwordx8 s[12:19], s[24:25], 0x4
	s_load_dwordx4 s[20:23], s[24:25], 0x24
	s_load_dwordx8 s[4:11], s[2:3], 0x0
	s_add_u32 s24, s24, 48
	s_addc_u32 s25, s25, 0
	s_waitcnt lgkmcnt(0)
	v_mul_hi_u32 v6, s13, v4
	s_add_i32 s28, s28, 4
	s_add_u32 s2, s2, 32
	s_addc_u32 s3, s3, 0
	v_add_u32_e32 v6, v4, v6
	v_lshrrev_b32_e32 v6, s14, v6
	v_mul_lo_u32 v8, v6, s12
	v_mul_hi_u32 v9, s16, v6
	s_cmp_lg_u32 s26, s28
	v_sub_u32_e32 v4, v4, v8
	v_add_u32_e32 v8, v6, v9
	v_mul_lo_u32 v9, v4, s4
	v_mul_lo_u32 v10, v4, s5
	v_lshrrev_b32_e32 v4, s17, v8
	v_mul_lo_u32 v8, v4, s15
	v_mul_hi_u32 v11, s19, v4
	v_sub_u32_e32 v6, v6, v8
	v_add_u32_e32 v8, v4, v11
	v_lshrrev_b32_e32 v8, s20, v8
	v_mul_hi_u32 v12, s22, v8
	v_mul_lo_u32 v14, v8, s18
	v_mul_lo_u32 v11, v6, s6
	;; [unrolled: 1-line block ×3, first 2 shown]
	v_sub_u32_e32 v14, v4, v14
	v_add_u32_e32 v4, v8, v12
	v_lshrrev_b32_e32 v4, s23, v4
	v_mul_lo_u32 v12, v4, s21
	v_mul_lo_u32 v15, v14, s8
	;; [unrolled: 1-line block ×3, first 2 shown]
	v_add3_u32 v3, v9, v3, v11
	v_sub_u32_e32 v8, v8, v12
	v_mul_lo_u32 v12, v8, s10
	v_mul_lo_u32 v8, v8, s11
	v_add3_u32 v5, v10, v5, v6
	v_add3_u32 v3, v15, v3, v12
	;; [unrolled: 1-line block ×3, first 2 shown]
	s_cbranch_scc1 .LBB13_34
; %bb.35:
	s_and_b32 s6, s27, 3
	s_cmp_eq_u32 s6, 0
	s_cbranch_scc0 .LBB13_39
	s_branch .LBB13_41
.LBB13_36:
                                        ; implicit-def: $vgpr3
                                        ; implicit-def: $vgpr5
	s_branch .LBB13_42
.LBB13_37:
	v_mov_b32_e32 v3, 0
	v_mov_b32_e32 v5, 0
	s_branch .LBB13_41
.LBB13_38:
	v_mov_b32_e32 v3, 0
	v_mov_b32_e32 v5, 0
	;; [unrolled: 1-line block ×3, first 2 shown]
	s_and_b32 s6, s27, 3
	s_cmp_eq_u32 s6, 0
	s_cbranch_scc1 .LBB13_41
.LBB13_39:
	s_lshl_b32 s2, s26, 3
	s_add_u32 s2, s34, s2
	s_addc_u32 s3, s35, 0
	s_add_u32 s2, s2, 0xc4
	s_addc_u32 s3, s3, 0
	s_mul_i32 s4, s26, 12
	s_add_u32 s4, s34, s4
	s_addc_u32 s5, s35, 0
.LBB13_40:                              ; =>This Inner Loop Header: Depth=1
	s_load_dwordx2 s[8:9], s[4:5], 0x4
	s_load_dword s7, s[4:5], 0xc
	s_load_dwordx2 s[10:11], s[2:3], 0x0
	s_add_u32 s4, s4, 12
	s_addc_u32 s5, s5, 0
	s_waitcnt lgkmcnt(0)
	v_mul_hi_u32 v6, s9, v4
	s_add_u32 s2, s2, 8
	s_addc_u32 s3, s3, 0
	s_add_i32 s6, s6, -1
	v_add_u32_e32 v6, v4, v6
	v_lshrrev_b32_e32 v8, s7, v6
	v_mul_lo_u32 v6, v8, s8
	s_cmp_lg_u32 s6, 0
	v_sub_u32_e32 v6, v4, v6
	v_mad_u64_u32 v[3:4], s[8:9], v6, s10, v[3:4]
	v_mad_u64_u32 v[5:6], s[8:9], v6, s11, v[5:6]
	v_mov_b32_e32 v4, v8
	s_cbranch_scc1 .LBB13_40
.LBB13_41:
	s_cbranch_execnz .LBB13_44
.LBB13_42:
	s_load_dwordx4 s[4:7], s[34:35], 0x4
	s_load_dwordx2 s[2:3], s[34:35], 0xc4
	s_cmp_lt_u32 s33, 2
	s_waitcnt lgkmcnt(0)
	v_mul_hi_u32 v3, s5, v1
	v_add_u32_e32 v3, v1, v3
	v_lshrrev_b32_e32 v4, s6, v3
	v_mul_lo_u32 v3, v4, s4
	v_sub_u32_e32 v1, v1, v3
	v_mul_lo_u32 v3, v1, s2
	v_mul_lo_u32 v5, v1, s3
	s_cbranch_scc1 .LBB13_44
; %bb.43:
	s_load_dwordx4 s[4:7], s[34:35], 0x10
	s_load_dwordx2 s[2:3], s[34:35], 0xcc
	s_waitcnt lgkmcnt(0)
	v_mul_hi_u32 v1, s5, v4
	v_add_u32_e32 v1, v4, v1
	v_lshrrev_b32_e32 v1, s6, v1
	v_mul_lo_u32 v1, v1, s4
	v_sub_u32_e32 v1, v4, v1
	v_mad_u64_u32 v[3:4], s[4:5], v1, s2, v[3:4]
	v_mad_u64_u32 v[5:6], s[2:3], v1, s3, v[5:6]
.LBB13_44:
	s_and_b64 vcc, exec, s[0:1]
	v_add_u32_e32 v1, 0x100, v7
	s_cbranch_vccnz .LBB13_50
; %bb.45:
	s_cmp_lg_u32 s33, 0
	s_waitcnt lgkmcnt(0)
	s_mov_b32 s26, 0
	s_cbranch_scc0 .LBB13_51
; %bb.46:
	s_min_u32 s27, s54, 15
	s_add_i32 s27, s27, 1
	s_cmp_eq_u32 s54, 2
	s_cbranch_scc1 .LBB13_52
; %bb.47:
	s_and_b32 s26, s27, 28
	s_add_u32 s2, s34, 0xc4
	s_addc_u32 s3, s35, 0
	v_mov_b32_e32 v8, 0
	s_mov_b32 s28, 0
	s_mov_b64 s[24:25], s[34:35]
	v_mov_b32_e32 v6, 0
	v_mov_b32_e32 v4, v1
.LBB13_48:                              ; =>This Inner Loop Header: Depth=1
	s_load_dwordx8 s[12:19], s[24:25], 0x4
	s_load_dwordx4 s[20:23], s[24:25], 0x24
	s_load_dwordx8 s[4:11], s[2:3], 0x0
	s_add_u32 s24, s24, 48
	s_addc_u32 s25, s25, 0
	s_waitcnt lgkmcnt(0)
	v_mul_hi_u32 v7, s13, v4
	s_add_i32 s28, s28, 4
	s_add_u32 s2, s2, 32
	s_addc_u32 s3, s3, 0
	v_add_u32_e32 v7, v4, v7
	v_lshrrev_b32_e32 v7, s14, v7
	v_mul_lo_u32 v9, v7, s12
	v_mul_hi_u32 v10, s16, v7
	s_cmp_lg_u32 s26, s28
	v_sub_u32_e32 v4, v4, v9
	v_add_u32_e32 v9, v7, v10
	v_mul_lo_u32 v10, v4, s4
	v_mul_lo_u32 v11, v4, s5
	v_lshrrev_b32_e32 v4, s17, v9
	v_mul_lo_u32 v9, v4, s15
	v_mul_hi_u32 v12, s19, v4
	v_sub_u32_e32 v7, v7, v9
	v_add_u32_e32 v9, v4, v12
	v_lshrrev_b32_e32 v9, s20, v9
	v_mul_hi_u32 v14, s22, v9
	v_mul_lo_u32 v15, v9, s18
	v_mul_lo_u32 v12, v7, s6
	;; [unrolled: 1-line block ×3, first 2 shown]
	v_sub_u32_e32 v15, v4, v15
	v_add_u32_e32 v4, v9, v14
	v_lshrrev_b32_e32 v4, s23, v4
	v_mul_lo_u32 v14, v4, s21
	v_mul_lo_u32 v16, v15, s8
	;; [unrolled: 1-line block ×3, first 2 shown]
	v_add3_u32 v6, v10, v6, v12
	v_sub_u32_e32 v9, v9, v14
	v_mul_lo_u32 v14, v9, s10
	v_mul_lo_u32 v9, v9, s11
	v_add3_u32 v7, v11, v8, v7
	v_add3_u32 v6, v16, v6, v14
	;; [unrolled: 1-line block ×3, first 2 shown]
	s_cbranch_scc1 .LBB13_48
; %bb.49:
	s_and_b32 s6, s27, 3
	s_cmp_eq_u32 s6, 0
	s_cbranch_scc0 .LBB13_53
	s_branch .LBB13_55
.LBB13_50:
                                        ; implicit-def: $vgpr6
                                        ; implicit-def: $vgpr8
	s_branch .LBB13_56
.LBB13_51:
	v_mov_b32_e32 v6, 0
	v_mov_b32_e32 v8, 0
	s_branch .LBB13_55
.LBB13_52:
	v_mov_b32_e32 v6, 0
	v_mov_b32_e32 v8, 0
	;; [unrolled: 1-line block ×3, first 2 shown]
	s_and_b32 s6, s27, 3
	s_cmp_eq_u32 s6, 0
	s_cbranch_scc1 .LBB13_55
.LBB13_53:
	s_lshl_b32 s2, s26, 3
	s_add_u32 s2, s34, s2
	s_addc_u32 s3, s35, 0
	s_add_u32 s2, s2, 0xc4
	s_addc_u32 s3, s3, 0
	s_mul_i32 s4, s26, 12
	s_add_u32 s4, s34, s4
	s_addc_u32 s5, s35, 0
.LBB13_54:                              ; =>This Inner Loop Header: Depth=1
	s_load_dwordx2 s[8:9], s[4:5], 0x4
	s_load_dword s7, s[4:5], 0xc
	s_load_dwordx2 s[10:11], s[2:3], 0x0
	s_add_u32 s4, s4, 12
	s_addc_u32 s5, s5, 0
	s_waitcnt lgkmcnt(0)
	v_mul_hi_u32 v7, s9, v4
	s_add_u32 s2, s2, 8
	s_addc_u32 s3, s3, 0
	s_add_i32 s6, s6, -1
	v_add_u32_e32 v7, v4, v7
	v_lshrrev_b32_e32 v10, s7, v7
	v_mul_lo_u32 v7, v10, s8
	s_cmp_lg_u32 s6, 0
	v_sub_u32_e32 v4, v4, v7
	v_mad_u64_u32 v[6:7], s[8:9], v4, s10, v[6:7]
	v_mad_u64_u32 v[8:9], s[8:9], v4, s11, v[8:9]
	v_mov_b32_e32 v4, v10
	s_cbranch_scc1 .LBB13_54
.LBB13_55:
	s_cbranch_execnz .LBB13_58
.LBB13_56:
	s_load_dwordx4 s[4:7], s[34:35], 0x4
	s_load_dwordx2 s[2:3], s[34:35], 0xc4
	s_cmp_lt_u32 s33, 2
	s_waitcnt lgkmcnt(0)
	v_mul_hi_u32 v4, s5, v1
	v_add_u32_e32 v4, v1, v4
	v_lshrrev_b32_e32 v4, s6, v4
	v_mul_lo_u32 v6, v4, s4
	v_sub_u32_e32 v1, v1, v6
	v_mul_lo_u32 v6, v1, s2
	v_mul_lo_u32 v8, v1, s3
	s_cbranch_scc1 .LBB13_58
; %bb.57:
	s_load_dwordx4 s[4:7], s[34:35], 0x10
	s_load_dwordx2 s[2:3], s[34:35], 0xcc
	s_waitcnt lgkmcnt(0)
	v_mul_hi_u32 v1, s5, v4
	v_add_u32_e32 v1, v4, v1
	v_lshrrev_b32_e32 v1, s6, v1
	v_mul_lo_u32 v1, v1, s4
	v_sub_u32_e32 v1, v4, v1
	v_mad_u64_u32 v[6:7], s[4:5], v1, s2, v[6:7]
	v_mad_u64_u32 v[8:9], s[2:3], v1, s3, v[8:9]
.LBB13_58:
	s_and_b64 vcc, exec, s[0:1]
	s_cbranch_vccnz .LBB13_64
; %bb.59:
	s_cmp_lg_u32 s33, 0
	s_waitcnt lgkmcnt(0)
	s_mov_b32 s24, 0
	s_cbranch_scc0 .LBB13_65
; %bb.60:
	s_min_u32 s25, s54, 15
	s_add_i32 s25, s25, 1
	s_cmp_eq_u32 s54, 2
	s_cbranch_scc1 .LBB13_66
; %bb.61:
	s_and_b32 s24, s25, 28
	s_add_u32 s20, s34, 0xc4
	s_addc_u32 s21, s35, 0
	v_mov_b32_e32 v11, 0
	s_mov_b32 s26, 0
	s_mov_b64 s[22:23], s[34:35]
	v_mov_b32_e32 v9, 0
	v_mov_b32_e32 v1, v13
.LBB13_62:                              ; =>This Inner Loop Header: Depth=1
	s_load_dwordx8 s[8:15], s[22:23], 0x4
	s_load_dwordx4 s[16:19], s[22:23], 0x24
	s_load_dwordx8 s[0:7], s[20:21], 0x0
	s_add_u32 s22, s22, 48
	s_addc_u32 s23, s23, 0
	s_waitcnt lgkmcnt(0)
	v_mul_hi_u32 v4, s9, v1
	s_add_i32 s26, s26, 4
	s_add_u32 s20, s20, 32
	s_addc_u32 s21, s21, 0
	v_add_u32_e32 v4, v1, v4
	v_lshrrev_b32_e32 v4, s10, v4
	v_mul_lo_u32 v7, v4, s8
	v_mul_hi_u32 v10, s12, v4
	s_cmp_lg_u32 s24, s26
	v_sub_u32_e32 v1, v1, v7
	v_add_u32_e32 v7, v4, v10
	v_mul_lo_u32 v10, v1, s0
	v_mul_lo_u32 v12, v1, s1
	v_lshrrev_b32_e32 v1, s13, v7
	v_mul_lo_u32 v7, v1, s11
	v_mul_hi_u32 v14, s15, v1
	v_sub_u32_e32 v4, v4, v7
	v_add_u32_e32 v7, v1, v14
	v_lshrrev_b32_e32 v7, s16, v7
	v_mul_hi_u32 v15, s18, v7
	v_mul_lo_u32 v16, v7, s14
	v_mul_lo_u32 v14, v4, s2
	;; [unrolled: 1-line block ×3, first 2 shown]
	v_sub_u32_e32 v16, v1, v16
	v_add_u32_e32 v1, v7, v15
	v_lshrrev_b32_e32 v1, s19, v1
	v_mul_lo_u32 v15, v1, s17
	v_mul_lo_u32 v17, v16, s4
	v_mul_lo_u32 v16, v16, s5
	v_add3_u32 v9, v10, v9, v14
	v_sub_u32_e32 v7, v7, v15
	v_mul_lo_u32 v15, v7, s6
	v_mul_lo_u32 v7, v7, s7
	v_add3_u32 v4, v12, v11, v4
	v_add3_u32 v9, v17, v9, v15
	;; [unrolled: 1-line block ×3, first 2 shown]
	s_cbranch_scc1 .LBB13_62
; %bb.63:
	s_and_b32 s4, s25, 3
	s_cmp_eq_u32 s4, 0
	s_cbranch_scc0 .LBB13_67
	s_branch .LBB13_69
.LBB13_64:
                                        ; implicit-def: $vgpr9
                                        ; implicit-def: $vgpr11
	s_branch .LBB13_70
.LBB13_65:
	v_mov_b32_e32 v9, 0
	v_mov_b32_e32 v11, 0
	s_branch .LBB13_69
.LBB13_66:
	v_mov_b32_e32 v9, 0
	v_mov_b32_e32 v11, 0
	;; [unrolled: 1-line block ×3, first 2 shown]
	s_and_b32 s4, s25, 3
	s_cmp_eq_u32 s4, 0
	s_cbranch_scc1 .LBB13_69
.LBB13_67:
	s_lshl_b32 s0, s24, 3
	s_add_u32 s0, s34, s0
	s_addc_u32 s1, s35, 0
	s_add_u32 s0, s0, 0xc4
	s_addc_u32 s1, s1, 0
	s_mul_i32 s2, s24, 12
	s_add_u32 s2, s34, s2
	s_addc_u32 s3, s35, 0
.LBB13_68:                              ; =>This Inner Loop Header: Depth=1
	s_load_dwordx2 s[6:7], s[2:3], 0x4
	s_load_dword s5, s[2:3], 0xc
	s_load_dwordx2 s[8:9], s[0:1], 0x0
	s_add_u32 s2, s2, 12
	s_addc_u32 s3, s3, 0
	s_waitcnt lgkmcnt(0)
	v_mul_hi_u32 v4, s7, v1
	s_add_u32 s0, s0, 8
	s_addc_u32 s1, s1, 0
	s_add_i32 s4, s4, -1
	v_add_u32_e32 v4, v1, v4
	v_lshrrev_b32_e32 v4, s5, v4
	v_mul_lo_u32 v7, v4, s6
	s_cmp_lg_u32 s4, 0
	v_sub_u32_e32 v1, v1, v7
	v_mad_u64_u32 v[9:10], s[6:7], v1, s8, v[9:10]
	v_mad_u64_u32 v[11:12], s[6:7], v1, s9, v[11:12]
	v_mov_b32_e32 v1, v4
	s_cbranch_scc1 .LBB13_68
.LBB13_69:
	s_cbranch_execnz .LBB13_72
.LBB13_70:
	s_load_dwordx4 s[0:3], s[34:35], 0x4
	s_load_dwordx2 s[4:5], s[34:35], 0xc4
	s_cmp_lt_u32 s33, 2
	s_waitcnt lgkmcnt(0)
	v_mul_hi_u32 v1, s1, v13
	v_add_u32_e32 v1, v13, v1
	v_lshrrev_b32_e32 v1, s2, v1
	v_mul_lo_u32 v4, v1, s0
	v_sub_u32_e32 v4, v13, v4
	v_mul_lo_u32 v9, v4, s4
	v_mul_lo_u32 v11, v4, s5
	s_cbranch_scc1 .LBB13_72
; %bb.71:
	s_load_dwordx4 s[0:3], s[34:35], 0x10
	s_load_dwordx2 s[4:5], s[34:35], 0xcc
	s_waitcnt lgkmcnt(0)
	v_mul_hi_u32 v4, s1, v1
	v_add_u32_e32 v4, v1, v4
	v_lshrrev_b32_e32 v4, s2, v4
	v_mul_lo_u32 v4, v4, s0
	v_sub_u32_e32 v1, v1, v4
	v_mad_u64_u32 v[9:10], s[0:1], v1, s4, v[9:10]
	v_mad_u64_u32 v[11:12], s[0:1], v1, s5, v[11:12]
.LBB13_72:
	s_load_dwordx4 s[0:3], s[34:35], 0x148
	s_load_dword s6, s[34:35], 0x158
	v_mov_b32_e32 v1, 1.0
	s_waitcnt lgkmcnt(0)
	global_load_dword v4, v2, s[2:3]
	v_mov_b32_e32 v2, 1.0
	s_waitcnt vmcnt(0)
	v_cmp_lt_f32_e32 vcc, s6, v4
	s_and_saveexec_b64 s[4:5], vcc
	s_cbranch_execz .LBB13_74
; %bb.73:
	v_add_f32_e32 v2, 0x33d6bf95, v4
	v_div_scale_f32 v4, s[8:9], v2, v2, s6
	v_div_scale_f32 v7, vcc, s6, v2, s6
	v_rcp_f32_e32 v10, v4
	v_fma_f32 v12, -v4, v10, 1.0
	v_fmac_f32_e32 v10, v12, v10
	v_mul_f32_e32 v12, v7, v10
	v_fma_f32 v13, -v4, v12, v7
	v_fmac_f32_e32 v12, v13, v10
	v_fma_f32 v4, -v4, v12, v7
	v_div_fmas_f32 v4, v4, v10, v12
	v_div_fixup_f32 v2, v4, v2, s6
.LBB13_74:
	s_or_b64 exec, exec, s[4:5]
	global_load_dword v4, v5, s[2:3]
	s_waitcnt vmcnt(0)
	v_cmp_lt_f32_e32 vcc, s6, v4
	s_and_saveexec_b64 s[4:5], vcc
	s_cbranch_execz .LBB13_76
; %bb.75:
	v_add_f32_e32 v1, 0x33d6bf95, v4
	v_div_scale_f32 v4, s[8:9], v1, v1, s6
	v_div_scale_f32 v5, vcc, s6, v1, s6
	v_rcp_f32_e32 v7, v4
	v_fma_f32 v10, -v4, v7, 1.0
	v_fmac_f32_e32 v7, v10, v7
	v_mul_f32_e32 v10, v5, v7
	v_fma_f32 v12, -v4, v10, v5
	v_fmac_f32_e32 v10, v12, v7
	v_fma_f32 v4, -v4, v10, v5
	v_div_fmas_f32 v4, v4, v7, v10
	v_div_fixup_f32 v1, v4, v1, s6
.LBB13_76:
	s_or_b64 exec, exec, s[4:5]
	global_load_dword v7, v8, s[2:3]
	v_mov_b32_e32 v4, 1.0
	v_mov_b32_e32 v5, 1.0
	s_waitcnt vmcnt(0)
	v_cmp_lt_f32_e32 vcc, s6, v7
	s_and_saveexec_b64 s[4:5], vcc
	s_cbranch_execz .LBB13_78
; %bb.77:
	v_add_f32_e32 v5, 0x33d6bf95, v7
	v_div_scale_f32 v7, s[8:9], v5, v5, s6
	v_div_scale_f32 v8, vcc, s6, v5, s6
	v_rcp_f32_e32 v10, v7
	v_fma_f32 v12, -v7, v10, 1.0
	v_fmac_f32_e32 v10, v12, v10
	v_mul_f32_e32 v12, v8, v10
	v_fma_f32 v13, -v7, v12, v8
	v_fmac_f32_e32 v12, v13, v10
	v_fma_f32 v7, -v7, v12, v8
	v_div_fmas_f32 v7, v7, v10, v12
	v_div_fixup_f32 v5, v7, v5, s6
.LBB13_78:
	s_or_b64 exec, exec, s[4:5]
	global_load_dword v7, v11, s[2:3]
	s_waitcnt vmcnt(0)
	v_cmp_lt_f32_e32 vcc, s6, v7
	s_and_saveexec_b64 s[2:3], vcc
	s_cbranch_execz .LBB13_80
; %bb.79:
	v_add_f32_e32 v4, 0x33d6bf95, v7
	v_div_scale_f32 v7, s[4:5], v4, v4, s6
	v_div_scale_f32 v8, vcc, s6, v4, s6
	v_rcp_f32_e32 v10, v7
	v_fma_f32 v11, -v7, v10, 1.0
	v_fmac_f32_e32 v10, v11, v10
	v_mul_f32_e32 v11, v8, v10
	v_fma_f32 v12, -v7, v11, v8
	v_fmac_f32_e32 v11, v12, v10
	v_fma_f32 v7, -v7, v11, v8
	v_div_fmas_f32 v7, v7, v10, v11
	v_div_fixup_f32 v4, v7, v4, s6
.LBB13_80:
	s_or_b64 exec, exec, s[2:3]
	global_store_dword v0, v2, s[0:1]
	global_store_dword v3, v1, s[0:1]
	;; [unrolled: 1-line block ×4, first 2 shown]
	s_endpgm
.LBB13_81:
	v_mov_b32_e32 v0, 0
	v_mov_b32_e32 v2, 0
	s_branch .LBB13_87
.LBB13_82:
	v_mov_b32_e32 v0, 0
	v_mov_b32_e32 v2, 0
	s_branch .LBB13_105
.LBB13_83:
	s_mov_b32 s58, 0
	v_mov_b32_e32 v0, 0
	v_mov_b32_e32 v2, 0
	;; [unrolled: 1-line block ×3, first 2 shown]
.LBB13_84:
	s_and_b32 s4, s59, 3
	s_cmp_eq_u32 s4, 0
	s_cbranch_scc1 .LBB13_87
; %bb.85:
	s_lshl_b32 s0, s58, 3
	s_add_u32 s0, s34, s0
	s_addc_u32 s1, s35, 0
	s_add_u32 s0, s0, 0xc4
	s_addc_u32 s1, s1, 0
	s_mul_i32 s2, s58, 12
	s_add_u32 s2, s34, s2
	s_addc_u32 s3, s35, 0
.LBB13_86:                              ; =>This Inner Loop Header: Depth=1
	s_load_dwordx2 s[6:7], s[2:3], 0x4
	s_load_dword s5, s[2:3], 0xc
	s_load_dwordx2 s[8:9], s[0:1], 0x0
	s_add_u32 s2, s2, 12
	s_addc_u32 s3, s3, 0
	s_waitcnt lgkmcnt(0)
	v_mul_hi_u32 v3, s7, v1
	s_add_u32 s0, s0, 8
	s_addc_u32 s1, s1, 0
	s_add_i32 s4, s4, -1
	v_add_u32_e32 v3, v1, v3
	v_lshrrev_b32_e32 v4, s5, v3
	v_mul_lo_u32 v3, v4, s6
	s_cmp_lg_u32 s4, 0
	v_sub_u32_e32 v3, v1, v3
	v_mad_u64_u32 v[0:1], s[6:7], v3, s8, v[0:1]
	v_mad_u64_u32 v[2:3], s[6:7], v3, s9, v[2:3]
	v_mov_b32_e32 v1, v4
	s_cbranch_scc1 .LBB13_86
.LBB13_87:
	s_cbranch_execnz .LBB13_90
.LBB13_88:
	s_waitcnt lgkmcnt(0)
	v_mul_hi_u32 v0, s25, v7
	s_andn2_b64 vcc, exec, s[42:43]
	v_add_u32_e32 v0, v7, v0
	v_lshrrev_b32_e32 v1, s26, v0
	v_mul_lo_u32 v0, v1, s24
	v_sub_u32_e32 v2, v7, v0
	v_mul_lo_u32 v0, v2, s20
	v_mul_lo_u32 v2, v2, s21
	s_cbranch_vccnz .LBB13_90
; %bb.89:
	v_mul_hi_u32 v3, s40, v1
	v_add_u32_e32 v3, v1, v3
	v_lshrrev_b32_e32 v3, s41, v3
	v_mul_lo_u32 v3, v3, s27
	v_sub_u32_e32 v3, v1, v3
	v_mad_u64_u32 v[0:1], s[0:1], v3, s22, v[0:1]
	v_mad_u64_u32 v[2:3], s[0:1], v3, s23, v[2:3]
.LBB13_90:
	s_waitcnt lgkmcnt(0)
	global_load_dword v2, v2, s[18:19]
	v_mov_b32_e32 v1, 1.0
	s_waitcnt vmcnt(0)
	v_cmp_lt_f32_e32 vcc, s55, v2
	s_and_saveexec_b64 s[0:1], vcc
	s_cbranch_execz .LBB13_92
; %bb.91:
	v_add_f32_e32 v1, 0x33d6bf95, v2
	v_div_scale_f32 v2, s[2:3], v1, v1, s55
	v_div_scale_f32 v3, vcc, s55, v1, s55
	v_rcp_f32_e32 v4, v2
	v_fma_f32 v5, -v2, v4, 1.0
	v_fmac_f32_e32 v4, v5, v4
	v_mul_f32_e32 v5, v3, v4
	v_fma_f32 v6, -v2, v5, v3
	v_fmac_f32_e32 v5, v6, v4
	v_fma_f32 v2, -v2, v5, v3
	v_div_fmas_f32 v2, v2, v4, v5
	v_div_fixup_f32 v1, v2, v1, s55
.LBB13_92:
	s_or_b64 exec, exec, s[0:1]
	v_add_u32_e32 v7, 0x80, v7
	global_store_dword v0, v1, s[16:17]
	s_or_b64 exec, exec, s[48:49]
	v_cmp_gt_i32_e32 vcc, s56, v7
	s_and_saveexec_b64 s[48:49], vcc
	s_cbranch_execnz .LBB13_15
.LBB13_93:
	s_or_b64 exec, exec, s[48:49]
	v_cmp_gt_i32_e32 vcc, s56, v7
	s_and_saveexec_b64 s[48:49], vcc
	s_cbranch_execz .LBB13_111
.LBB13_94:
	s_andn2_b64 vcc, exec, s[36:37]
	s_cbranch_vccnz .LBB13_99
; %bb.95:
	s_andn2_b64 vcc, exec, s[46:47]
	s_cbranch_vccnz .LBB13_100
; %bb.96:
	s_add_i32 s59, s57, 1
	s_cmp_eq_u32 s54, 2
	s_cbranch_scc1 .LBB13_114
; %bb.97:
	s_and_b32 s58, s59, 28
	v_mov_b32_e32 v2, 0
	s_mov_b32 s60, 0
	s_mov_b64 s[50:51], s[34:35]
	s_mov_b64 s[52:53], s[44:45]
	v_mov_b32_e32 v0, 0
	v_mov_b32_e32 v1, v7
.LBB13_98:                              ; =>This Inner Loop Header: Depth=1
	s_load_dwordx8 s[8:15], s[50:51], 0x4
	s_load_dwordx4 s[28:31], s[50:51], 0x24
	s_load_dwordx8 s[0:7], s[52:53], 0x0
	s_add_u32 s50, s50, 48
	s_addc_u32 s51, s51, 0
	s_waitcnt lgkmcnt(0)
	v_mul_hi_u32 v3, s9, v1
	s_add_i32 s60, s60, 4
	s_add_u32 s52, s52, 32
	s_addc_u32 s53, s53, 0
	v_add_u32_e32 v3, v1, v3
	v_lshrrev_b32_e32 v3, s10, v3
	v_mul_lo_u32 v4, v3, s8
	v_mul_hi_u32 v5, s12, v3
	s_cmp_eq_u32 s58, s60
	v_sub_u32_e32 v1, v1, v4
	v_add_u32_e32 v4, v3, v5
	v_mul_lo_u32 v5, v1, s0
	v_mul_lo_u32 v6, v1, s1
	v_lshrrev_b32_e32 v1, s13, v4
	v_mul_lo_u32 v4, v1, s11
	v_mul_hi_u32 v8, s15, v1
	v_sub_u32_e32 v3, v3, v4
	v_add_u32_e32 v4, v1, v8
	v_lshrrev_b32_e32 v4, s28, v4
	v_mul_hi_u32 v9, s30, v4
	v_mul_lo_u32 v10, v4, s14
	v_mul_lo_u32 v8, v3, s2
	;; [unrolled: 1-line block ×3, first 2 shown]
	v_sub_u32_e32 v10, v1, v10
	v_add_u32_e32 v1, v4, v9
	v_lshrrev_b32_e32 v1, s31, v1
	v_mul_lo_u32 v9, v1, s29
	v_mul_lo_u32 v11, v10, s4
	;; [unrolled: 1-line block ×3, first 2 shown]
	v_add3_u32 v0, v5, v0, v8
	v_sub_u32_e32 v4, v4, v9
	v_mul_lo_u32 v9, v4, s6
	v_mul_lo_u32 v4, v4, s7
	v_add3_u32 v2, v6, v2, v3
	v_add3_u32 v0, v11, v0, v9
	;; [unrolled: 1-line block ×3, first 2 shown]
	s_cbranch_scc0 .LBB13_98
	s_branch .LBB13_115
.LBB13_99:
                                        ; implicit-def: $vgpr0
                                        ; implicit-def: $vgpr2
	s_branch .LBB13_119
.LBB13_100:
	v_mov_b32_e32 v0, 0
	v_mov_b32_e32 v2, 0
	s_branch .LBB13_118
.LBB13_101:
	s_mov_b32 s58, 0
	v_mov_b32_e32 v0, 0
	v_mov_b32_e32 v2, 0
	;; [unrolled: 1-line block ×3, first 2 shown]
.LBB13_102:
	s_and_b32 s4, s59, 3
	s_cmp_eq_u32 s4, 0
	s_cbranch_scc1 .LBB13_105
; %bb.103:
	s_lshl_b32 s0, s58, 3
	s_add_u32 s0, s34, s0
	s_addc_u32 s1, s35, 0
	s_add_u32 s0, s0, 0xc4
	s_addc_u32 s1, s1, 0
	s_mul_i32 s2, s58, 12
	s_add_u32 s2, s34, s2
	s_addc_u32 s3, s35, 0
.LBB13_104:                             ; =>This Inner Loop Header: Depth=1
	s_load_dwordx2 s[6:7], s[2:3], 0x4
	s_load_dword s5, s[2:3], 0xc
	s_load_dwordx2 s[8:9], s[0:1], 0x0
	s_add_u32 s2, s2, 12
	s_addc_u32 s3, s3, 0
	s_waitcnt lgkmcnt(0)
	v_mul_hi_u32 v3, s7, v1
	s_add_u32 s0, s0, 8
	s_addc_u32 s1, s1, 0
	s_add_i32 s4, s4, -1
	v_add_u32_e32 v3, v1, v3
	v_lshrrev_b32_e32 v4, s5, v3
	v_mul_lo_u32 v3, v4, s6
	s_cmp_lg_u32 s4, 0
	v_sub_u32_e32 v3, v1, v3
	v_mad_u64_u32 v[0:1], s[6:7], v3, s8, v[0:1]
	v_mad_u64_u32 v[2:3], s[6:7], v3, s9, v[2:3]
	v_mov_b32_e32 v1, v4
	s_cbranch_scc1 .LBB13_104
.LBB13_105:
	s_cbranch_execnz .LBB13_108
.LBB13_106:
	s_waitcnt lgkmcnt(0)
	v_mul_hi_u32 v0, s25, v7
	s_andn2_b64 vcc, exec, s[42:43]
	v_add_u32_e32 v0, v7, v0
	v_lshrrev_b32_e32 v1, s26, v0
	v_mul_lo_u32 v0, v1, s24
	v_sub_u32_e32 v2, v7, v0
	v_mul_lo_u32 v0, v2, s20
	v_mul_lo_u32 v2, v2, s21
	s_cbranch_vccnz .LBB13_108
; %bb.107:
	v_mul_hi_u32 v3, s40, v1
	v_add_u32_e32 v3, v1, v3
	v_lshrrev_b32_e32 v3, s41, v3
	v_mul_lo_u32 v3, v3, s27
	v_sub_u32_e32 v3, v1, v3
	v_mad_u64_u32 v[0:1], s[0:1], v3, s22, v[0:1]
	v_mad_u64_u32 v[2:3], s[0:1], v3, s23, v[2:3]
.LBB13_108:
	s_waitcnt lgkmcnt(0)
	global_load_dword v2, v2, s[18:19]
	v_mov_b32_e32 v1, 1.0
	s_waitcnt vmcnt(0)
	v_cmp_lt_f32_e32 vcc, s55, v2
	s_and_saveexec_b64 s[0:1], vcc
	s_cbranch_execz .LBB13_110
; %bb.109:
	v_add_f32_e32 v1, 0x33d6bf95, v2
	v_div_scale_f32 v2, s[2:3], v1, v1, s55
	v_div_scale_f32 v3, vcc, s55, v1, s55
	v_rcp_f32_e32 v4, v2
	v_fma_f32 v5, -v2, v4, 1.0
	v_fmac_f32_e32 v4, v5, v4
	v_mul_f32_e32 v5, v3, v4
	v_fma_f32 v6, -v2, v5, v3
	v_fmac_f32_e32 v5, v6, v4
	v_fma_f32 v2, -v2, v5, v3
	v_div_fmas_f32 v2, v2, v4, v5
	v_div_fixup_f32 v1, v2, v1, s55
.LBB13_110:
	s_or_b64 exec, exec, s[0:1]
	v_add_u32_e32 v7, 0x80, v7
	global_store_dword v0, v1, s[16:17]
	s_or_b64 exec, exec, s[48:49]
	v_cmp_gt_i32_e32 vcc, s56, v7
	s_and_saveexec_b64 s[48:49], vcc
	s_cbranch_execnz .LBB13_94
.LBB13_111:
	s_or_b64 exec, exec, s[48:49]
	v_cmp_gt_i32_e32 vcc, s56, v7
	s_and_saveexec_b64 s[48:49], vcc
	s_cbranch_execnz .LBB13_124
.LBB13_112:
	s_or_b64 exec, exec, s[48:49]
                                        ; implicit-def: $vgpr13
                                        ; implicit-def: $vgpr7
	s_andn2_saveexec_b64 s[0:1], s[38:39]
	s_cbranch_execnz .LBB13_8
.LBB13_113:
	s_endpgm
.LBB13_114:
	s_mov_b32 s58, 0
	v_mov_b32_e32 v0, 0
	v_mov_b32_e32 v2, 0
	;; [unrolled: 1-line block ×3, first 2 shown]
.LBB13_115:
	s_and_b32 s4, s59, 3
	s_cmp_eq_u32 s4, 0
	s_cbranch_scc1 .LBB13_118
; %bb.116:
	s_lshl_b32 s0, s58, 3
	s_add_u32 s0, s34, s0
	s_addc_u32 s1, s35, 0
	s_add_u32 s0, s0, 0xc4
	s_addc_u32 s1, s1, 0
	s_mul_i32 s2, s58, 12
	s_add_u32 s2, s34, s2
	s_addc_u32 s3, s35, 0
.LBB13_117:                             ; =>This Inner Loop Header: Depth=1
	s_load_dwordx2 s[6:7], s[2:3], 0x4
	s_load_dword s5, s[2:3], 0xc
	s_load_dwordx2 s[8:9], s[0:1], 0x0
	s_add_u32 s2, s2, 12
	s_addc_u32 s3, s3, 0
	s_waitcnt lgkmcnt(0)
	v_mul_hi_u32 v3, s7, v1
	s_add_u32 s0, s0, 8
	s_addc_u32 s1, s1, 0
	s_add_i32 s4, s4, -1
	v_add_u32_e32 v3, v1, v3
	v_lshrrev_b32_e32 v4, s5, v3
	v_mul_lo_u32 v3, v4, s6
	s_cmp_lg_u32 s4, 0
	v_sub_u32_e32 v3, v1, v3
	v_mad_u64_u32 v[0:1], s[6:7], v3, s8, v[0:1]
	v_mad_u64_u32 v[2:3], s[6:7], v3, s9, v[2:3]
	v_mov_b32_e32 v1, v4
	s_cbranch_scc1 .LBB13_117
.LBB13_118:
	s_cbranch_execnz .LBB13_121
.LBB13_119:
	s_waitcnt lgkmcnt(0)
	v_mul_hi_u32 v0, s25, v7
	s_andn2_b64 vcc, exec, s[42:43]
	v_add_u32_e32 v0, v7, v0
	v_lshrrev_b32_e32 v1, s26, v0
	v_mul_lo_u32 v0, v1, s24
	v_sub_u32_e32 v2, v7, v0
	v_mul_lo_u32 v0, v2, s20
	v_mul_lo_u32 v2, v2, s21
	s_cbranch_vccnz .LBB13_121
; %bb.120:
	v_mul_hi_u32 v3, s40, v1
	v_add_u32_e32 v3, v1, v3
	v_lshrrev_b32_e32 v3, s41, v3
	v_mul_lo_u32 v3, v3, s27
	v_sub_u32_e32 v3, v1, v3
	v_mad_u64_u32 v[0:1], s[0:1], v3, s22, v[0:1]
	v_mad_u64_u32 v[2:3], s[0:1], v3, s23, v[2:3]
.LBB13_121:
	s_waitcnt lgkmcnt(0)
	global_load_dword v2, v2, s[18:19]
	v_mov_b32_e32 v1, 1.0
	s_waitcnt vmcnt(0)
	v_cmp_lt_f32_e32 vcc, s55, v2
	s_and_saveexec_b64 s[0:1], vcc
	s_cbranch_execz .LBB13_123
; %bb.122:
	v_add_f32_e32 v1, 0x33d6bf95, v2
	v_div_scale_f32 v2, s[2:3], v1, v1, s55
	v_div_scale_f32 v3, vcc, s55, v1, s55
	v_rcp_f32_e32 v4, v2
	v_fma_f32 v5, -v2, v4, 1.0
	v_fmac_f32_e32 v4, v5, v4
	v_mul_f32_e32 v5, v3, v4
	v_fma_f32 v6, -v2, v5, v3
	v_fmac_f32_e32 v5, v6, v4
	v_fma_f32 v2, -v2, v5, v3
	v_div_fmas_f32 v2, v2, v4, v5
	v_div_fixup_f32 v1, v2, v1, s55
.LBB13_123:
	s_or_b64 exec, exec, s[0:1]
	v_add_u32_e32 v7, 0x80, v7
	global_store_dword v0, v1, s[16:17]
	s_or_b64 exec, exec, s[48:49]
	v_cmp_gt_i32_e32 vcc, s56, v7
	s_and_saveexec_b64 s[48:49], vcc
	s_cbranch_execz .LBB13_112
.LBB13_124:
	s_andn2_b64 vcc, exec, s[36:37]
	s_cbranch_vccnz .LBB13_129
; %bb.125:
	s_andn2_b64 vcc, exec, s[46:47]
	s_cbranch_vccnz .LBB13_130
; %bb.126:
	s_add_i32 s57, s57, 1
	s_cmp_eq_u32 s54, 2
	s_cbranch_scc1 .LBB13_131
; %bb.127:
	s_and_b32 s50, s57, 28
	v_mov_b32_e32 v2, 0
	s_mov_b32 s51, 0
	s_mov_b64 s[46:47], s[34:35]
	v_mov_b32_e32 v0, 0
	v_mov_b32_e32 v1, v7
.LBB13_128:                             ; =>This Inner Loop Header: Depth=1
	s_load_dwordx8 s[8:15], s[46:47], 0x4
	s_load_dwordx4 s[28:31], s[46:47], 0x24
	s_load_dwordx8 s[0:7], s[44:45], 0x0
	s_add_u32 s46, s46, 48
	s_addc_u32 s47, s47, 0
	s_waitcnt lgkmcnt(0)
	v_mul_hi_u32 v3, s9, v1
	s_add_i32 s51, s51, 4
	s_add_u32 s44, s44, 32
	s_addc_u32 s45, s45, 0
	v_add_u32_e32 v3, v1, v3
	v_lshrrev_b32_e32 v3, s10, v3
	v_mul_lo_u32 v4, v3, s8
	v_mul_hi_u32 v5, s12, v3
	s_cmp_eq_u32 s50, s51
	v_sub_u32_e32 v1, v1, v4
	v_add_u32_e32 v4, v3, v5
	v_mul_lo_u32 v5, v1, s0
	v_mul_lo_u32 v6, v1, s1
	v_lshrrev_b32_e32 v1, s13, v4
	v_mul_lo_u32 v4, v1, s11
	v_mul_hi_u32 v8, s15, v1
	v_sub_u32_e32 v3, v3, v4
	v_add_u32_e32 v4, v1, v8
	v_lshrrev_b32_e32 v4, s28, v4
	v_mul_hi_u32 v9, s30, v4
	v_mul_lo_u32 v10, v4, s14
	v_mul_lo_u32 v8, v3, s2
	;; [unrolled: 1-line block ×3, first 2 shown]
	v_sub_u32_e32 v10, v1, v10
	v_add_u32_e32 v1, v4, v9
	v_lshrrev_b32_e32 v1, s31, v1
	v_mul_lo_u32 v9, v1, s29
	v_mul_lo_u32 v11, v10, s4
	;; [unrolled: 1-line block ×3, first 2 shown]
	v_add3_u32 v0, v5, v0, v8
	v_sub_u32_e32 v4, v4, v9
	v_mul_lo_u32 v9, v4, s6
	v_mul_lo_u32 v4, v4, s7
	v_add3_u32 v2, v6, v2, v3
	v_add3_u32 v0, v11, v0, v9
	;; [unrolled: 1-line block ×3, first 2 shown]
	s_cbranch_scc0 .LBB13_128
	s_branch .LBB13_132
.LBB13_129:
                                        ; implicit-def: $vgpr0
                                        ; implicit-def: $vgpr2
	s_branch .LBB13_136
.LBB13_130:
	v_mov_b32_e32 v0, 0
	v_mov_b32_e32 v2, 0
	s_branch .LBB13_135
.LBB13_131:
	s_mov_b32 s50, 0
	v_mov_b32_e32 v0, 0
	v_mov_b32_e32 v2, 0
	;; [unrolled: 1-line block ×3, first 2 shown]
.LBB13_132:
	s_and_b32 s4, s57, 3
	s_cmp_eq_u32 s4, 0
	s_cbranch_scc1 .LBB13_135
; %bb.133:
	s_lshl_b32 s0, s50, 3
	s_add_u32 s0, s34, s0
	s_addc_u32 s1, s35, 0
	s_add_u32 s0, s0, 0xc4
	s_addc_u32 s1, s1, 0
	s_mul_i32 s2, s50, 12
	s_add_u32 s2, s34, s2
	s_addc_u32 s3, s35, 0
.LBB13_134:                             ; =>This Inner Loop Header: Depth=1
	s_load_dwordx2 s[6:7], s[2:3], 0x4
	s_load_dword s5, s[2:3], 0xc
	s_load_dwordx2 s[8:9], s[0:1], 0x0
	s_add_u32 s2, s2, 12
	s_addc_u32 s3, s3, 0
	s_waitcnt lgkmcnt(0)
	v_mul_hi_u32 v3, s7, v1
	s_add_u32 s0, s0, 8
	s_addc_u32 s1, s1, 0
	s_add_i32 s4, s4, -1
	v_add_u32_e32 v3, v1, v3
	v_lshrrev_b32_e32 v4, s5, v3
	v_mul_lo_u32 v3, v4, s6
	s_cmp_lg_u32 s4, 0
	v_sub_u32_e32 v3, v1, v3
	v_mad_u64_u32 v[0:1], s[6:7], v3, s8, v[0:1]
	v_mad_u64_u32 v[2:3], s[6:7], v3, s9, v[2:3]
	v_mov_b32_e32 v1, v4
	s_cbranch_scc1 .LBB13_134
.LBB13_135:
	s_cbranch_execnz .LBB13_138
.LBB13_136:
	s_waitcnt lgkmcnt(0)
	v_mul_hi_u32 v0, s25, v7
	s_andn2_b64 vcc, exec, s[42:43]
	v_add_u32_e32 v0, v7, v0
	v_lshrrev_b32_e32 v1, s26, v0
	v_mul_lo_u32 v0, v1, s24
	v_sub_u32_e32 v2, v7, v0
	v_mul_lo_u32 v0, v2, s20
	v_mul_lo_u32 v2, v2, s21
	s_cbranch_vccnz .LBB13_138
; %bb.137:
	v_mul_hi_u32 v3, s40, v1
	v_add_u32_e32 v3, v1, v3
	v_lshrrev_b32_e32 v3, s41, v3
	v_mul_lo_u32 v3, v3, s27
	v_sub_u32_e32 v3, v1, v3
	v_mad_u64_u32 v[0:1], s[0:1], v3, s22, v[0:1]
	v_mad_u64_u32 v[2:3], s[0:1], v3, s23, v[2:3]
.LBB13_138:
	s_waitcnt lgkmcnt(0)
	global_load_dword v2, v2, s[18:19]
	v_mov_b32_e32 v1, 1.0
	s_waitcnt vmcnt(0)
	v_cmp_lt_f32_e32 vcc, s55, v2
	s_and_saveexec_b64 s[0:1], vcc
	s_cbranch_execz .LBB13_140
; %bb.139:
	v_add_f32_e32 v1, 0x33d6bf95, v2
	v_div_scale_f32 v2, s[2:3], v1, v1, s55
	v_div_scale_f32 v3, vcc, s55, v1, s55
	v_rcp_f32_e32 v4, v2
	v_fma_f32 v5, -v2, v4, 1.0
	v_fmac_f32_e32 v4, v5, v4
	v_mul_f32_e32 v5, v3, v4
	v_fma_f32 v6, -v2, v5, v3
	v_fmac_f32_e32 v5, v6, v4
	v_fma_f32 v2, -v2, v5, v3
	v_div_fmas_f32 v2, v2, v4, v5
	v_div_fixup_f32 v1, v2, v1, s55
.LBB13_140:
	s_or_b64 exec, exec, s[0:1]
	global_store_dword v0, v1, s[16:17]
	s_or_b64 exec, exec, s[48:49]
                                        ; implicit-def: $vgpr13
                                        ; implicit-def: $vgpr7
	s_andn2_saveexec_b64 s[0:1], s[38:39]
	s_cbranch_execz .LBB13_113
	s_branch .LBB13_8
	.section	.rodata,"a",@progbits
	.p2align	6, 0x0
	.amdhsa_kernel _ZN2at6native32elementwise_kernel_manual_unrollILi128ELi4EZNS0_22gpu_kernel_impl_nocastIZZZNS0_12_GLOBAL__N_124renorm_scale_factor_implERNS_18TensorIteratorBaseEdENKUlvE_clEvENKUlvE0_clEvEUlfE_EEvS5_RKT_EUlibE_EEviT1_
		.amdhsa_group_segment_fixed_size 0
		.amdhsa_private_segment_fixed_size 0
		.amdhsa_kernarg_size 360
		.amdhsa_user_sgpr_count 6
		.amdhsa_user_sgpr_private_segment_buffer 1
		.amdhsa_user_sgpr_dispatch_ptr 0
		.amdhsa_user_sgpr_queue_ptr 0
		.amdhsa_user_sgpr_kernarg_segment_ptr 1
		.amdhsa_user_sgpr_dispatch_id 0
		.amdhsa_user_sgpr_flat_scratch_init 0
		.amdhsa_user_sgpr_private_segment_size 0
		.amdhsa_uses_dynamic_stack 0
		.amdhsa_system_sgpr_private_segment_wavefront_offset 0
		.amdhsa_system_sgpr_workgroup_id_x 1
		.amdhsa_system_sgpr_workgroup_id_y 0
		.amdhsa_system_sgpr_workgroup_id_z 0
		.amdhsa_system_sgpr_workgroup_info 0
		.amdhsa_system_vgpr_workitem_id 0
		.amdhsa_next_free_vgpr 18
		.amdhsa_next_free_sgpr 61
		.amdhsa_reserve_vcc 1
		.amdhsa_reserve_flat_scratch 0
		.amdhsa_float_round_mode_32 0
		.amdhsa_float_round_mode_16_64 0
		.amdhsa_float_denorm_mode_32 3
		.amdhsa_float_denorm_mode_16_64 3
		.amdhsa_dx10_clamp 1
		.amdhsa_ieee_mode 1
		.amdhsa_fp16_overflow 0
		.amdhsa_exception_fp_ieee_invalid_op 0
		.amdhsa_exception_fp_denorm_src 0
		.amdhsa_exception_fp_ieee_div_zero 0
		.amdhsa_exception_fp_ieee_overflow 0
		.amdhsa_exception_fp_ieee_underflow 0
		.amdhsa_exception_fp_ieee_inexact 0
		.amdhsa_exception_int_div_zero 0
	.end_amdhsa_kernel
	.section	.text._ZN2at6native32elementwise_kernel_manual_unrollILi128ELi4EZNS0_22gpu_kernel_impl_nocastIZZZNS0_12_GLOBAL__N_124renorm_scale_factor_implERNS_18TensorIteratorBaseEdENKUlvE_clEvENKUlvE0_clEvEUlfE_EEvS5_RKT_EUlibE_EEviT1_,"axG",@progbits,_ZN2at6native32elementwise_kernel_manual_unrollILi128ELi4EZNS0_22gpu_kernel_impl_nocastIZZZNS0_12_GLOBAL__N_124renorm_scale_factor_implERNS_18TensorIteratorBaseEdENKUlvE_clEvENKUlvE0_clEvEUlfE_EEvS5_RKT_EUlibE_EEviT1_,comdat
.Lfunc_end13:
	.size	_ZN2at6native32elementwise_kernel_manual_unrollILi128ELi4EZNS0_22gpu_kernel_impl_nocastIZZZNS0_12_GLOBAL__N_124renorm_scale_factor_implERNS_18TensorIteratorBaseEdENKUlvE_clEvENKUlvE0_clEvEUlfE_EEvS5_RKT_EUlibE_EEviT1_, .Lfunc_end13-_ZN2at6native32elementwise_kernel_manual_unrollILi128ELi4EZNS0_22gpu_kernel_impl_nocastIZZZNS0_12_GLOBAL__N_124renorm_scale_factor_implERNS_18TensorIteratorBaseEdENKUlvE_clEvENKUlvE0_clEvEUlfE_EEvS5_RKT_EUlibE_EEviT1_
                                        ; -- End function
	.set _ZN2at6native32elementwise_kernel_manual_unrollILi128ELi4EZNS0_22gpu_kernel_impl_nocastIZZZNS0_12_GLOBAL__N_124renorm_scale_factor_implERNS_18TensorIteratorBaseEdENKUlvE_clEvENKUlvE0_clEvEUlfE_EEvS5_RKT_EUlibE_EEviT1_.num_vgpr, 18
	.set _ZN2at6native32elementwise_kernel_manual_unrollILi128ELi4EZNS0_22gpu_kernel_impl_nocastIZZZNS0_12_GLOBAL__N_124renorm_scale_factor_implERNS_18TensorIteratorBaseEdENKUlvE_clEvENKUlvE0_clEvEUlfE_EEvS5_RKT_EUlibE_EEviT1_.num_agpr, 0
	.set _ZN2at6native32elementwise_kernel_manual_unrollILi128ELi4EZNS0_22gpu_kernel_impl_nocastIZZZNS0_12_GLOBAL__N_124renorm_scale_factor_implERNS_18TensorIteratorBaseEdENKUlvE_clEvENKUlvE0_clEvEUlfE_EEvS5_RKT_EUlibE_EEviT1_.numbered_sgpr, 61
	.set _ZN2at6native32elementwise_kernel_manual_unrollILi128ELi4EZNS0_22gpu_kernel_impl_nocastIZZZNS0_12_GLOBAL__N_124renorm_scale_factor_implERNS_18TensorIteratorBaseEdENKUlvE_clEvENKUlvE0_clEvEUlfE_EEvS5_RKT_EUlibE_EEviT1_.num_named_barrier, 0
	.set _ZN2at6native32elementwise_kernel_manual_unrollILi128ELi4EZNS0_22gpu_kernel_impl_nocastIZZZNS0_12_GLOBAL__N_124renorm_scale_factor_implERNS_18TensorIteratorBaseEdENKUlvE_clEvENKUlvE0_clEvEUlfE_EEvS5_RKT_EUlibE_EEviT1_.private_seg_size, 0
	.set _ZN2at6native32elementwise_kernel_manual_unrollILi128ELi4EZNS0_22gpu_kernel_impl_nocastIZZZNS0_12_GLOBAL__N_124renorm_scale_factor_implERNS_18TensorIteratorBaseEdENKUlvE_clEvENKUlvE0_clEvEUlfE_EEvS5_RKT_EUlibE_EEviT1_.uses_vcc, 1
	.set _ZN2at6native32elementwise_kernel_manual_unrollILi128ELi4EZNS0_22gpu_kernel_impl_nocastIZZZNS0_12_GLOBAL__N_124renorm_scale_factor_implERNS_18TensorIteratorBaseEdENKUlvE_clEvENKUlvE0_clEvEUlfE_EEvS5_RKT_EUlibE_EEviT1_.uses_flat_scratch, 0
	.set _ZN2at6native32elementwise_kernel_manual_unrollILi128ELi4EZNS0_22gpu_kernel_impl_nocastIZZZNS0_12_GLOBAL__N_124renorm_scale_factor_implERNS_18TensorIteratorBaseEdENKUlvE_clEvENKUlvE0_clEvEUlfE_EEvS5_RKT_EUlibE_EEviT1_.has_dyn_sized_stack, 0
	.set _ZN2at6native32elementwise_kernel_manual_unrollILi128ELi4EZNS0_22gpu_kernel_impl_nocastIZZZNS0_12_GLOBAL__N_124renorm_scale_factor_implERNS_18TensorIteratorBaseEdENKUlvE_clEvENKUlvE0_clEvEUlfE_EEvS5_RKT_EUlibE_EEviT1_.has_recursion, 0
	.set _ZN2at6native32elementwise_kernel_manual_unrollILi128ELi4EZNS0_22gpu_kernel_impl_nocastIZZZNS0_12_GLOBAL__N_124renorm_scale_factor_implERNS_18TensorIteratorBaseEdENKUlvE_clEvENKUlvE0_clEvEUlfE_EEvS5_RKT_EUlibE_EEviT1_.has_indirect_call, 0
	.section	.AMDGPU.csdata,"",@progbits
; Kernel info:
; codeLenInByte = 6496
; TotalNumSgprs: 65
; NumVgprs: 18
; ScratchSize: 0
; MemoryBound: 0
; FloatMode: 240
; IeeeMode: 1
; LDSByteSize: 0 bytes/workgroup (compile time only)
; SGPRBlocks: 8
; VGPRBlocks: 4
; NumSGPRsForWavesPerEU: 65
; NumVGPRsForWavesPerEU: 18
; Occupancy: 10
; WaveLimiterHint : 1
; COMPUTE_PGM_RSRC2:SCRATCH_EN: 0
; COMPUTE_PGM_RSRC2:USER_SGPR: 6
; COMPUTE_PGM_RSRC2:TRAP_HANDLER: 0
; COMPUTE_PGM_RSRC2:TGID_X_EN: 1
; COMPUTE_PGM_RSRC2:TGID_Y_EN: 0
; COMPUTE_PGM_RSRC2:TGID_Z_EN: 0
; COMPUTE_PGM_RSRC2:TIDIG_COMP_CNT: 0
	.section	.text._ZN2at6native32elementwise_kernel_manual_unrollILi128ELi4EZNS0_15gpu_kernel_implIZZZNS0_12_GLOBAL__N_124renorm_scale_factor_implERNS_18TensorIteratorBaseEdENKUlvE_clEvENKUlvE0_clEvEUlfE_EEvS5_RKT_EUlibE_EEviT1_,"axG",@progbits,_ZN2at6native32elementwise_kernel_manual_unrollILi128ELi4EZNS0_15gpu_kernel_implIZZZNS0_12_GLOBAL__N_124renorm_scale_factor_implERNS_18TensorIteratorBaseEdENKUlvE_clEvENKUlvE0_clEvEUlfE_EEvS5_RKT_EUlibE_EEviT1_,comdat
	.globl	_ZN2at6native32elementwise_kernel_manual_unrollILi128ELi4EZNS0_15gpu_kernel_implIZZZNS0_12_GLOBAL__N_124renorm_scale_factor_implERNS_18TensorIteratorBaseEdENKUlvE_clEvENKUlvE0_clEvEUlfE_EEvS5_RKT_EUlibE_EEviT1_ ; -- Begin function _ZN2at6native32elementwise_kernel_manual_unrollILi128ELi4EZNS0_15gpu_kernel_implIZZZNS0_12_GLOBAL__N_124renorm_scale_factor_implERNS_18TensorIteratorBaseEdENKUlvE_clEvENKUlvE0_clEvEUlfE_EEvS5_RKT_EUlibE_EEviT1_
	.p2align	8
	.type	_ZN2at6native32elementwise_kernel_manual_unrollILi128ELi4EZNS0_15gpu_kernel_implIZZZNS0_12_GLOBAL__N_124renorm_scale_factor_implERNS_18TensorIteratorBaseEdENKUlvE_clEvENKUlvE0_clEvEUlfE_EEvS5_RKT_EUlibE_EEviT1_,@function
_ZN2at6native32elementwise_kernel_manual_unrollILi128ELi4EZNS0_15gpu_kernel_implIZZZNS0_12_GLOBAL__N_124renorm_scale_factor_implERNS_18TensorIteratorBaseEdENKUlvE_clEvENKUlvE0_clEvEUlfE_EEvS5_RKT_EUlibE_EEviT1_: ; @_ZN2at6native32elementwise_kernel_manual_unrollILi128ELi4EZNS0_15gpu_kernel_implIZZZNS0_12_GLOBAL__N_124renorm_scale_factor_implERNS_18TensorIteratorBaseEdENKUlvE_clEvENKUlvE0_clEvEUlfE_EEvS5_RKT_EUlibE_EEviT1_
; %bb.0:
	s_load_dword s33, s[4:5], 0x24
	s_load_dword s40, s[4:5], 0x0
	s_load_dwordx8 s[8:15], s[4:5], 0x8
	v_lshl_or_b32 v8, s6, 9, v0
	v_or_b32_e32 v0, 0x180, v8
	s_waitcnt lgkmcnt(0)
	s_bfe_u32 s15, s33, 0x80008
	v_cmp_le_i32_e32 vcc, s40, v0
	s_mov_b64 s[2:3], 0
	s_mov_b64 s[6:7], 0
	s_and_saveexec_b64 s[0:1], vcc
	s_xor_b64 s[4:5], exec, s[0:1]
	s_cbranch_execz .LBB14_1035
; %bb.1:
	v_cmp_gt_i32_e32 vcc, s40, v8
	s_mov_b64 s[20:21], -1
	s_mov_b64 s[22:23], 0
	s_mov_b64 s[16:17], 0
	s_and_saveexec_b64 s[18:19], vcc
	s_cbranch_execz .LBB14_254
; %bb.2:
	v_mul_lo_u32 v0, v8, s13
	v_mov_b32_e32 v1, s11
	s_and_b32 s24, 0xffff, s15
	s_cmp_lt_i32 s24, 11
	v_ashrrev_i32_e32 v2, 31, v0
	v_add_co_u32_e32 v0, vcc, s10, v0
	v_addc_co_u32_e32 v1, vcc, v1, v2, vcc
	s_cbranch_scc1 .LBB14_9
; %bb.3:
	s_cmp_gt_i32 s24, 25
	s_cbranch_scc0 .LBB14_20
; %bb.4:
	s_cmp_gt_i32 s24, 28
	s_cbranch_scc0 .LBB14_24
	;; [unrolled: 3-line block ×4, first 2 shown]
; %bb.7:
	s_cmp_eq_u32 s24, 46
	s_cbranch_scc0 .LBB14_30
; %bb.8:
	global_load_dword v2, v[0:1], off
	s_mov_b64 s[0:1], -1
	s_waitcnt vmcnt(0)
	v_lshlrev_b32_e32 v2, 16, v2
	s_branch .LBB14_32
.LBB14_9:
                                        ; implicit-def: $vgpr2
	s_mov_b64 s[0:1], 0
	s_cbranch_execnz .LBB14_205
.LBB14_10:
	s_andn2_b64 vcc, exec, s[0:1]
	s_cbranch_vccnz .LBB14_252
.LBB14_11:
	s_waitcnt vmcnt(0)
	v_cmp_lt_f32_e32 vcc, s14, v2
	v_mov_b32_e32 v0, 1.0
	s_and_saveexec_b64 s[0:1], vcc
	s_cbranch_execz .LBB14_13
; %bb.12:
	v_add_f32_e32 v0, 0x33d6bf95, v2
	v_div_scale_f32 v1, s[6:7], v0, v0, s14
	v_div_scale_f32 v2, vcc, s14, v0, s14
	v_rcp_f32_e32 v3, v1
	v_fma_f32 v4, -v1, v3, 1.0
	v_fmac_f32_e32 v3, v4, v3
	v_mul_f32_e32 v4, v2, v3
	v_fma_f32 v5, -v1, v4, v2
	v_fmac_f32_e32 v4, v5, v3
	v_fma_f32 v1, -v1, v4, v2
	v_div_fmas_f32 v1, v1, v3, v4
	v_div_fixup_f32 v0, v1, v0, s14
.LBB14_13:
	s_or_b64 exec, exec, s[0:1]
	v_mul_lo_u32 v1, v8, s12
	v_mov_b32_e32 v3, s9
	s_and_b32 s26, s33, 0xff
	s_cmp_lt_i32 s26, 11
	v_ashrrev_i32_e32 v4, 31, v1
	v_add_co_u32_e32 v2, vcc, s8, v1
	v_addc_co_u32_e32 v3, vcc, v3, v4, vcc
	s_cbranch_scc1 .LBB14_21
; %bb.14:
	s_and_b32 s27, 0xffff, s26
	s_cmp_gt_i32 s27, 25
	s_cbranch_scc0 .LBB14_25
; %bb.15:
	s_cmp_gt_i32 s27, 28
	s_cbranch_scc0 .LBB14_27
; %bb.16:
	;; [unrolled: 3-line block ×4, first 2 shown]
	s_mov_b64 s[20:21], 0
	s_mov_b64 s[0:1], -1
	s_cmp_eq_u32 s27, 46
	s_mov_b64 s[6:7], 0
	s_cbranch_scc0 .LBB14_36
; %bb.19:
	v_bfe_u32 v1, v0, 16, 1
	s_movk_i32 s0, 0x7fff
	v_add3_u32 v1, v0, v1, s0
	v_cmp_o_f32_e32 vcc, v0, v0
	v_mov_b32_e32 v4, 0x7fc0
	v_cndmask_b32_sdwa v1, v4, v1, vcc dst_sel:DWORD dst_unused:UNUSED_PAD src0_sel:DWORD src1_sel:WORD_1
	global_store_dword v[2:3], v1, off
	s_mov_b64 s[6:7], -1
	s_mov_b64 s[0:1], 0
	s_branch .LBB14_36
.LBB14_20:
	s_mov_b64 s[0:1], 0
                                        ; implicit-def: $vgpr2
	s_cbranch_execnz .LBB14_170
	s_branch .LBB14_204
.LBB14_21:
	s_mov_b64 s[0:1], 0
	s_mov_b64 s[6:7], 0
	s_cbranch_execnz .LBB14_105
.LBB14_22:
	s_andn2_b64 vcc, exec, s[6:7]
	s_cbranch_vccnz .LBB14_143
.LBB14_23:
	v_add_u32_e32 v8, 0x80, v8
	s_mov_b64 s[20:21], -1
	s_branch .LBB14_253
.LBB14_24:
	s_mov_b64 s[6:7], -1
	s_mov_b64 s[0:1], 0
                                        ; implicit-def: $vgpr2
	s_branch .LBB14_151
.LBB14_25:
	s_mov_b64 s[20:21], -1
	s_mov_b64 s[0:1], 0
	s_mov_b64 s[6:7], 0
	s_branch .LBB14_63
.LBB14_26:
	s_mov_b64 s[6:7], -1
	s_mov_b64 s[0:1], 0
                                        ; implicit-def: $vgpr2
	s_branch .LBB14_146
.LBB14_27:
	s_mov_b64 s[20:21], -1
	s_mov_b64 s[0:1], 0
	s_mov_b64 s[6:7], 0
	s_branch .LBB14_46
.LBB14_28:
	s_mov_b64 s[6:7], -1
	s_branch .LBB14_31
.LBB14_29:
	s_mov_b64 s[20:21], -1
	s_mov_b64 s[0:1], 0
	s_mov_b64 s[6:7], 0
	s_branch .LBB14_42
.LBB14_30:
	s_mov_b64 s[16:17], -1
.LBB14_31:
	s_mov_b64 s[0:1], 0
                                        ; implicit-def: $vgpr2
.LBB14_32:
	s_and_b64 vcc, exec, s[6:7]
	s_cbranch_vccz .LBB14_145
; %bb.33:
	s_cmp_eq_u32 s24, 44
	s_cbranch_scc0 .LBB14_144
; %bb.34:
	global_load_ubyte v2, v[0:1], off
	s_movk_i32 s6, 0xff
	v_mov_b32_e32 v3, 0x7f800001
	v_mov_b32_e32 v4, 0x400000
	s_mov_b64 s[0:1], -1
	s_mov_b64 s[16:17], 0
	s_waitcnt vmcnt(0)
	v_lshlrev_b32_e32 v5, 23, v2
	v_cmp_ne_u32_e32 vcc, s6, v2
	v_cndmask_b32_e32 v3, v3, v5, vcc
	v_cmp_ne_u32_e32 vcc, 0, v2
	v_cndmask_b32_e32 v2, v4, v3, vcc
	s_branch .LBB14_145
.LBB14_35:
	s_mov_b64 s[20:21], -1
	s_mov_b64 s[0:1], 0
	s_mov_b64 s[6:7], 0
.LBB14_36:
	s_and_b64 vcc, exec, s[20:21]
	s_cbranch_vccz .LBB14_41
; %bb.37:
	s_cmp_eq_u32 s27, 44
	s_mov_b64 s[0:1], -1
	s_cbranch_scc0 .LBB14_41
; %bb.38:
	v_bfe_u32 v1, v0, 23, 8
	s_movk_i32 s0, 0xff
	v_cmp_ne_u32_e32 vcc, s0, v1
	v_mov_b32_e32 v4, 0xff
	s_and_saveexec_b64 s[6:7], vcc
; %bb.39:
	s_mov_b32 s0, 0x3fffff
	v_and_b32_e32 v5, 0x400000, v0
	v_and_or_b32 v1, v0, s0, v1
	v_cmp_ne_u32_e32 vcc, 0, v5
	v_cmp_ne_u32_e64 s[0:1], 0, v1
	s_and_b64 s[0:1], vcc, s[0:1]
	v_lshrrev_b32_e32 v4, 23, v0
	v_cndmask_b32_e64 v1, 0, 1, s[0:1]
	v_add_u32_e32 v4, v4, v1
; %bb.40:
	s_or_b64 exec, exec, s[6:7]
	s_mov_b64 s[6:7], -1
	s_mov_b64 s[0:1], 0
	global_store_byte v[2:3], v4, off
.LBB14_41:
	s_mov_b64 s[20:21], 0
.LBB14_42:
	s_and_b64 vcc, exec, s[20:21]
	s_cbranch_vccz .LBB14_45
; %bb.43:
	s_cmp_eq_u32 s27, 29
	s_mov_b64 s[0:1], -1
	s_cbranch_scc0 .LBB14_45
; %bb.44:
	v_trunc_f32_e32 v1, v0
	v_mul_f32_e32 v4, 0x2f800000, v1
	v_floor_f32_e32 v4, v4
	v_fmac_f32_e32 v1, 0xcf800000, v4
	v_cvt_u32_f32_e32 v5, v4
	v_cvt_u32_f32_e32 v4, v1
	s_mov_b64 s[6:7], -1
	s_mov_b64 s[0:1], 0
	s_mov_b64 s[20:21], 0
	global_store_dwordx2 v[2:3], v[4:5], off
	s_branch .LBB14_46
.LBB14_45:
	s_mov_b64 s[20:21], 0
.LBB14_46:
	s_and_b64 vcc, exec, s[20:21]
	s_cbranch_vccz .LBB14_62
; %bb.47:
	s_cmp_lt_i32 s27, 27
	s_mov_b64 s[6:7], -1
	s_cbranch_scc1 .LBB14_53
; %bb.48:
	v_cvt_u32_f32_e32 v1, v0
	s_cmp_gt_i32 s27, 27
	s_cbranch_scc0 .LBB14_50
; %bb.49:
	s_mov_b64 s[6:7], 0
	global_store_dword v[2:3], v1, off
.LBB14_50:
	s_andn2_b64 vcc, exec, s[6:7]
	s_cbranch_vccnz .LBB14_52
; %bb.51:
	global_store_short v[2:3], v1, off
.LBB14_52:
	s_mov_b64 s[6:7], 0
.LBB14_53:
	s_andn2_b64 vcc, exec, s[6:7]
	s_cbranch_vccnz .LBB14_61
; %bb.54:
	v_and_b32_e32 v1, 0x7fffffff, v0
	s_mov_b32 s6, 0x43800000
	v_cmp_gt_u32_e32 vcc, s6, v1
	v_mov_b32_e32 v4, 0x80
	s_and_saveexec_b64 s[6:7], vcc
	s_cbranch_execz .LBB14_60
; %bb.55:
	s_mov_b32 s20, 0x3bffffff
	v_cmp_lt_u32_e32 vcc, s20, v1
	s_mov_b64 s[20:21], 0
                                        ; implicit-def: $vgpr1
	s_and_saveexec_b64 s[24:25], vcc
	s_xor_b64 s[24:25], exec, s[24:25]
	s_cbranch_execz .LBB14_283
; %bb.56:
	v_bfe_u32 v1, v0, 20, 1
	s_mov_b32 s28, 0x487ffff
	v_add3_u32 v1, v0, v1, s28
	s_mov_b64 s[20:21], exec
	v_lshrrev_b32_e32 v1, 20, v1
	s_andn2_saveexec_b64 s[24:25], s[24:25]
	s_cbranch_execnz .LBB14_284
.LBB14_57:
	s_or_b64 exec, exec, s[24:25]
	v_mov_b32_e32 v4, 0
	s_and_saveexec_b64 s[24:25], s[20:21]
.LBB14_58:
	v_lshrrev_b32_e32 v4, 24, v0
	s_movk_i32 s20, 0x80
	v_and_or_b32 v4, v4, s20, v1
.LBB14_59:
	s_or_b64 exec, exec, s[24:25]
.LBB14_60:
	s_or_b64 exec, exec, s[6:7]
	global_store_byte v[2:3], v4, off
.LBB14_61:
	s_mov_b64 s[6:7], -1
.LBB14_62:
	s_mov_b64 s[20:21], 0
.LBB14_63:
	s_and_b64 vcc, exec, s[20:21]
	s_cbranch_vccz .LBB14_104
; %bb.64:
	s_cmp_gt_i32 s27, 22
	s_mov_b64 s[20:21], -1
	s_cbranch_scc0 .LBB14_96
; %bb.65:
	s_cmp_lt_i32 s27, 24
	s_mov_b64 s[6:7], -1
	s_cbranch_scc1 .LBB14_85
; %bb.66:
	s_cmp_gt_i32 s27, 24
	s_cbranch_scc0 .LBB14_74
; %bb.67:
	v_and_b32_e32 v1, 0x7fffffff, v0
	s_mov_b32 s6, 0x47800000
	v_cmp_gt_u32_e32 vcc, s6, v1
	v_mov_b32_e32 v4, 0x80
	s_and_saveexec_b64 s[6:7], vcc
	s_cbranch_execz .LBB14_73
; %bb.68:
	s_mov_b32 s20, 0x37ffffff
	v_cmp_lt_u32_e32 vcc, s20, v1
	s_mov_b64 s[20:21], 0
                                        ; implicit-def: $vgpr1
	s_and_saveexec_b64 s[24:25], vcc
	s_xor_b64 s[24:25], exec, s[24:25]
	s_cbranch_execz .LBB14_287
; %bb.69:
	v_bfe_u32 v1, v0, 21, 1
	s_mov_b32 s28, 0x88fffff
	v_add3_u32 v1, v0, v1, s28
	s_mov_b64 s[20:21], exec
	v_lshrrev_b32_e32 v1, 21, v1
	s_andn2_saveexec_b64 s[24:25], s[24:25]
	s_cbranch_execnz .LBB14_288
.LBB14_70:
	s_or_b64 exec, exec, s[24:25]
	v_mov_b32_e32 v4, 0
	s_and_saveexec_b64 s[24:25], s[20:21]
.LBB14_71:
	v_lshrrev_b32_e32 v4, 24, v0
	s_movk_i32 s20, 0x80
	v_and_or_b32 v4, v4, s20, v1
.LBB14_72:
	s_or_b64 exec, exec, s[24:25]
.LBB14_73:
	s_or_b64 exec, exec, s[6:7]
	s_mov_b64 s[6:7], 0
	global_store_byte v[2:3], v4, off
.LBB14_74:
	s_and_b64 vcc, exec, s[6:7]
	s_cbranch_vccz .LBB14_84
; %bb.75:
	v_and_b32_e32 v4, 0x7fffffff, v0
	s_mov_b32 s6, 0x43f00000
	v_cmp_gt_u32_e32 vcc, s6, v4
                                        ; implicit-def: $vgpr1
	s_and_saveexec_b64 s[6:7], vcc
	s_xor_b64 s[6:7], exec, s[6:7]
	s_cbranch_execz .LBB14_81
; %bb.76:
	s_mov_b32 s20, 0x3c7fffff
	v_cmp_lt_u32_e32 vcc, s20, v4
                                        ; implicit-def: $vgpr1
	s_and_saveexec_b64 s[20:21], vcc
	s_xor_b64 s[20:21], exec, s[20:21]
; %bb.77:
	v_bfe_u32 v1, v0, 20, 1
	s_mov_b32 s24, 0x407ffff
	v_add3_u32 v1, v0, v1, s24
	v_lshrrev_b32_e32 v4, 20, v1
	v_and_b32_e32 v1, 0xff00000, v1
	s_mov_b32 s24, 0x7f00000
	v_mov_b32_e32 v5, 0x7e
	v_cmp_ne_u32_e32 vcc, s24, v1
	v_cndmask_b32_e32 v1, v5, v4, vcc
; %bb.78:
	s_andn2_saveexec_b64 s[20:21], s[20:21]
; %bb.79:
	s_mov_b32 s24, 0x46800000
	v_add_f32_e64 v1, |v0|, s24
; %bb.80:
	s_or_b64 exec, exec, s[20:21]
                                        ; implicit-def: $vgpr4
.LBB14_81:
	s_andn2_saveexec_b64 s[6:7], s[6:7]
; %bb.82:
	s_mov_b32 s20, 0x7f800000
	v_mov_b32_e32 v1, 0x7e
	v_mov_b32_e32 v5, 0x7f
	v_cmp_lt_u32_e32 vcc, s20, v4
	v_cndmask_b32_e32 v1, v1, v5, vcc
; %bb.83:
	s_or_b64 exec, exec, s[6:7]
	v_lshrrev_b32_e32 v4, 24, v0
	s_movk_i32 s6, 0x80
	v_and_or_b32 v1, v4, s6, v1
	global_store_byte v[2:3], v1, off
.LBB14_84:
	s_mov_b64 s[6:7], 0
.LBB14_85:
	s_andn2_b64 vcc, exec, s[6:7]
	s_cbranch_vccnz .LBB14_95
; %bb.86:
	v_and_b32_e32 v4, 0x7fffffff, v0
	s_mov_b32 s6, 0x47800000
	v_cmp_gt_u32_e32 vcc, s6, v4
                                        ; implicit-def: $vgpr1
	s_and_saveexec_b64 s[6:7], vcc
	s_xor_b64 s[6:7], exec, s[6:7]
	s_cbranch_execz .LBB14_92
; %bb.87:
	s_mov_b32 s20, 0x387fffff
	v_cmp_lt_u32_e32 vcc, s20, v4
                                        ; implicit-def: $vgpr1
	s_and_saveexec_b64 s[20:21], vcc
	s_xor_b64 s[20:21], exec, s[20:21]
; %bb.88:
	v_bfe_u32 v1, v0, 21, 1
	s_mov_b32 s24, 0x80fffff
	v_add3_u32 v1, v0, v1, s24
	v_lshrrev_b32_e32 v1, 21, v1
; %bb.89:
	s_andn2_saveexec_b64 s[20:21], s[20:21]
; %bb.90:
	s_mov_b32 s24, 0x43000000
	v_add_f32_e64 v1, |v0|, s24
; %bb.91:
	s_or_b64 exec, exec, s[20:21]
                                        ; implicit-def: $vgpr4
.LBB14_92:
	s_andn2_saveexec_b64 s[6:7], s[6:7]
; %bb.93:
	s_mov_b32 s20, 0x7f800000
	v_mov_b32_e32 v1, 0x7c
	v_mov_b32_e32 v5, 0x7f
	v_cmp_lt_u32_e32 vcc, s20, v4
	v_cndmask_b32_e32 v1, v1, v5, vcc
; %bb.94:
	s_or_b64 exec, exec, s[6:7]
	v_lshrrev_b32_e32 v4, 24, v0
	s_movk_i32 s6, 0x80
	v_and_or_b32 v1, v4, s6, v1
	global_store_byte v[2:3], v1, off
.LBB14_95:
	s_mov_b64 s[20:21], 0
	s_mov_b64 s[6:7], -1
.LBB14_96:
	s_andn2_b64 vcc, exec, s[20:21]
	s_cbranch_vccnz .LBB14_104
; %bb.97:
	s_cmp_gt_i32 s27, 14
	s_mov_b64 s[20:21], -1
	s_cbranch_scc0 .LBB14_101
; %bb.98:
	s_cmp_eq_u32 s27, 15
	s_mov_b64 s[0:1], -1
	s_cbranch_scc0 .LBB14_100
; %bb.99:
	v_bfe_u32 v1, v0, 16, 1
	s_movk_i32 s0, 0x7fff
	v_add3_u32 v1, v0, v1, s0
	v_cmp_o_f32_e32 vcc, v0, v0
	v_mov_b32_e32 v4, 0x7fc0
	v_cndmask_b32_sdwa v1, v4, v1, vcc dst_sel:DWORD dst_unused:UNUSED_PAD src0_sel:DWORD src1_sel:WORD_1
	global_store_short v[2:3], v1, off
	s_mov_b64 s[6:7], -1
	s_mov_b64 s[0:1], 0
.LBB14_100:
	s_mov_b64 s[20:21], 0
.LBB14_101:
	s_and_b64 vcc, exec, s[20:21]
	s_cbranch_vccz .LBB14_104
; %bb.102:
	s_cmp_eq_u32 s27, 11
	s_mov_b64 s[0:1], -1
	s_cbranch_scc0 .LBB14_104
; %bb.103:
	v_cmp_neq_f32_e32 vcc, 0, v0
	v_cndmask_b32_e64 v1, 0, 1, vcc
	s_mov_b64 s[6:7], -1
	s_mov_b64 s[0:1], 0
	global_store_byte v[2:3], v1, off
.LBB14_104:
	s_branch .LBB14_22
.LBB14_105:
	s_and_b32 s20, 0xffff, s26
	s_cmp_lt_i32 s20, 5
	s_mov_b64 s[6:7], -1
	s_cbranch_scc1 .LBB14_126
; %bb.106:
	s_cmp_lt_i32 s20, 8
	s_cbranch_scc1 .LBB14_116
; %bb.107:
	s_cmp_lt_i32 s20, 9
	s_cbranch_scc1 .LBB14_113
; %bb.108:
	s_cmp_gt_i32 s20, 9
	s_cbranch_scc0 .LBB14_110
; %bb.109:
	v_cvt_f64_f32_e32 v[4:5], v0
	v_mov_b32_e32 v6, 0
	v_mov_b32_e32 v7, v6
	s_mov_b64 s[6:7], 0
	global_store_dwordx4 v[2:3], v[4:7], off
.LBB14_110:
	s_andn2_b64 vcc, exec, s[6:7]
	s_cbranch_vccnz .LBB14_112
; %bb.111:
	v_mov_b32_e32 v1, 0
	global_store_dwordx2 v[2:3], v[0:1], off
.LBB14_112:
	s_mov_b64 s[6:7], 0
.LBB14_113:
	s_andn2_b64 vcc, exec, s[6:7]
	s_cbranch_vccnz .LBB14_115
; %bb.114:
	v_cvt_f16_f32_e32 v1, v0
	global_store_dword v[2:3], v1, off
.LBB14_115:
	s_mov_b64 s[6:7], 0
.LBB14_116:
	s_andn2_b64 vcc, exec, s[6:7]
	s_cbranch_vccnz .LBB14_125
; %bb.117:
	s_cmp_lt_i32 s20, 6
	s_mov_b64 s[6:7], -1
	s_cbranch_scc1 .LBB14_123
; %bb.118:
	s_cmp_gt_i32 s20, 6
	s_cbranch_scc0 .LBB14_120
; %bb.119:
	v_cvt_f64_f32_e32 v[4:5], v0
	s_mov_b64 s[6:7], 0
	global_store_dwordx2 v[2:3], v[4:5], off
.LBB14_120:
	s_andn2_b64 vcc, exec, s[6:7]
	s_cbranch_vccnz .LBB14_122
; %bb.121:
	global_store_dword v[2:3], v0, off
.LBB14_122:
	s_mov_b64 s[6:7], 0
.LBB14_123:
	s_andn2_b64 vcc, exec, s[6:7]
	s_cbranch_vccnz .LBB14_125
; %bb.124:
	v_cvt_f16_f32_e32 v1, v0
	global_store_short v[2:3], v1, off
.LBB14_125:
	s_mov_b64 s[6:7], 0
.LBB14_126:
	s_andn2_b64 vcc, exec, s[6:7]
	s_cbranch_vccnz .LBB14_142
; %bb.127:
	s_cmp_lt_i32 s20, 2
	s_mov_b64 s[6:7], -1
	s_cbranch_scc1 .LBB14_137
; %bb.128:
	s_cmp_lt_i32 s20, 3
	s_cbranch_scc1 .LBB14_134
; %bb.129:
	s_cmp_gt_i32 s20, 3
	s_cbranch_scc0 .LBB14_131
; %bb.130:
	v_trunc_f32_e32 v1, v0
	s_mov_b32 s6, 0x2f800000
	v_mul_f32_e64 v4, |v1|, s6
	v_floor_f32_e32 v4, v4
	s_mov_b32 s6, 0xcf800000
	v_cvt_u32_f32_e32 v5, v4
	v_fma_f32 v4, v4, s6, |v1|
	v_cvt_u32_f32_e32 v4, v4
	v_ashrrev_i32_e32 v1, 31, v1
	v_xor_b32_e32 v5, v5, v1
	s_mov_b64 s[6:7], 0
	v_xor_b32_e32 v4, v4, v1
	v_sub_co_u32_e32 v4, vcc, v4, v1
	v_subb_co_u32_e32 v5, vcc, v5, v1, vcc
	global_store_dwordx2 v[2:3], v[4:5], off
.LBB14_131:
	s_andn2_b64 vcc, exec, s[6:7]
	s_cbranch_vccnz .LBB14_133
; %bb.132:
	v_cvt_i32_f32_e32 v1, v0
	global_store_dword v[2:3], v1, off
.LBB14_133:
	s_mov_b64 s[6:7], 0
.LBB14_134:
	s_andn2_b64 vcc, exec, s[6:7]
	s_cbranch_vccnz .LBB14_136
; %bb.135:
	v_cvt_i32_f32_e32 v1, v0
	global_store_short v[2:3], v1, off
.LBB14_136:
	s_mov_b64 s[6:7], 0
.LBB14_137:
	s_andn2_b64 vcc, exec, s[6:7]
	s_cbranch_vccnz .LBB14_142
; %bb.138:
	s_cmp_gt_i32 s20, 0
	s_mov_b64 s[6:7], -1
	s_cbranch_scc0 .LBB14_140
; %bb.139:
	v_cvt_i32_f32_e32 v1, v0
	s_mov_b64 s[6:7], 0
	global_store_byte v[2:3], v1, off
.LBB14_140:
	s_andn2_b64 vcc, exec, s[6:7]
	s_cbranch_vccnz .LBB14_142
; %bb.141:
	v_trunc_f32_e32 v0, v0
	s_mov_b32 s6, 0x2f800000
	v_mul_f32_e64 v1, |v0|, s6
	v_floor_f32_e32 v1, v1
	s_mov_b32 s6, 0xcf800000
	v_fma_f32 v1, v1, s6, |v0|
	v_cvt_u32_f32_e32 v1, v1
	v_ashrrev_i32_e32 v0, 31, v0
	v_xor_b32_e32 v1, v1, v0
	v_sub_u32_e32 v0, v1, v0
	global_store_byte v[2:3], v0, off
.LBB14_142:
	s_branch .LBB14_23
.LBB14_143:
	s_mov_b64 s[20:21], 0
                                        ; implicit-def: $vgpr8
	s_branch .LBB14_253
.LBB14_144:
	s_mov_b64 s[16:17], -1
                                        ; implicit-def: $vgpr2
.LBB14_145:
	s_mov_b64 s[6:7], 0
.LBB14_146:
	s_and_b64 vcc, exec, s[6:7]
	s_cbranch_vccz .LBB14_150
; %bb.147:
	s_cmp_eq_u32 s24, 29
	s_cbranch_scc0 .LBB14_149
; %bb.148:
	global_load_dwordx2 v[2:3], v[0:1], off
	s_mov_b64 s[0:1], -1
	s_mov_b64 s[16:17], 0
	s_mov_b64 s[6:7], 0
	s_waitcnt vmcnt(0)
	v_ffbh_u32_e32 v4, v3
	v_min_u32_e32 v4, 32, v4
	v_lshlrev_b64 v[2:3], v4, v[2:3]
	v_min_u32_e32 v2, 1, v2
	v_or_b32_e32 v2, v3, v2
	v_cvt_f32_u32_e32 v2, v2
	v_sub_u32_e32 v3, 32, v4
	v_ldexp_f32 v2, v2, v3
	s_branch .LBB14_151
.LBB14_149:
	s_mov_b64 s[16:17], -1
                                        ; implicit-def: $vgpr2
.LBB14_150:
	s_mov_b64 s[6:7], 0
.LBB14_151:
	s_and_b64 vcc, exec, s[6:7]
	s_cbranch_vccz .LBB14_169
; %bb.152:
	s_cmp_lt_i32 s24, 27
	s_cbranch_scc1 .LBB14_155
; %bb.153:
	s_cmp_gt_i32 s24, 27
	s_cbranch_scc0 .LBB14_156
; %bb.154:
	global_load_dword v2, v[0:1], off
	s_mov_b64 s[0:1], 0
	s_waitcnt vmcnt(0)
	v_cvt_f32_u32_e32 v2, v2
	s_branch .LBB14_157
.LBB14_155:
	s_mov_b64 s[0:1], -1
                                        ; implicit-def: $vgpr2
	s_branch .LBB14_160
.LBB14_156:
	s_mov_b64 s[0:1], -1
                                        ; implicit-def: $vgpr2
.LBB14_157:
	s_andn2_b64 vcc, exec, s[0:1]
	s_cbranch_vccnz .LBB14_159
; %bb.158:
	global_load_ushort v2, v[0:1], off
	s_waitcnt vmcnt(0)
	v_cvt_f32_u32_e32 v2, v2
.LBB14_159:
	s_mov_b64 s[0:1], 0
.LBB14_160:
	s_andn2_b64 vcc, exec, s[0:1]
	s_cbranch_vccnz .LBB14_168
; %bb.161:
	global_load_ubyte v3, v[0:1], off
	s_movk_i32 s0, 0x7f
	s_waitcnt vmcnt(0)
	v_cmp_lt_i16_e32 vcc, s0, v3
	s_mov_b64 s[0:1], 0
	s_and_saveexec_b64 s[6:7], vcc
	s_xor_b64 s[6:7], exec, s[6:7]
	s_cbranch_execz .LBB14_181
; %bb.162:
	s_movk_i32 s0, 0x80
	v_cmp_eq_u16_e32 vcc, s0, v3
	s_mov_b64 s[0:1], -1
	s_and_saveexec_b64 s[20:21], vcc
; %bb.163:
	s_xor_b64 s[0:1], exec, -1
; %bb.164:
	s_or_b64 exec, exec, s[20:21]
	s_and_b64 s[0:1], s[0:1], exec
	s_or_saveexec_b64 s[6:7], s[6:7]
	v_mov_b32_e32 v2, 0x7f800001
	s_xor_b64 exec, exec, s[6:7]
	s_cbranch_execnz .LBB14_182
.LBB14_165:
	s_or_b64 exec, exec, s[6:7]
	s_and_saveexec_b64 s[6:7], s[0:1]
	s_cbranch_execz .LBB14_167
.LBB14_166:
	v_lshlrev_b32_e32 v2, 24, v3
	v_and_b32_e32 v3, 0xffff, v3
	v_and_b32_e32 v4, 7, v3
	v_ffbh_u32_e32 v6, v4
	v_min_u32_e32 v6, 32, v6
	v_subrev_u32_e32 v7, 28, v6
	v_bfe_u32 v5, v3, 3, 4
	v_lshlrev_b32_e32 v3, v7, v3
	v_sub_u32_e32 v6, 29, v6
	v_and_b32_e32 v3, 7, v3
	v_cmp_eq_u32_e32 vcc, 0, v5
	v_cndmask_b32_e32 v5, v5, v6, vcc
	v_cndmask_b32_e32 v3, v4, v3, vcc
	v_mov_b32_e32 v4, 0x3b800000
	v_lshlrev_b32_e32 v3, 20, v3
	v_and_b32_e32 v2, 0x80000000, v2
	v_lshl_add_u32 v4, v5, 23, v4
	v_or3_b32 v2, v2, v4, v3
.LBB14_167:
	s_or_b64 exec, exec, s[6:7]
.LBB14_168:
	s_mov_b64 s[0:1], -1
.LBB14_169:
	s_branch .LBB14_204
.LBB14_170:
	s_cmp_gt_i32 s24, 22
	s_cbranch_scc0 .LBB14_180
; %bb.171:
	s_cmp_lt_i32 s24, 24
	s_cbranch_scc1 .LBB14_183
; %bb.172:
	s_cmp_gt_i32 s24, 24
	s_cbranch_scc0 .LBB14_184
; %bb.173:
	global_load_ubyte v3, v[0:1], off
	s_movk_i32 s0, 0x7f
	s_waitcnt vmcnt(0)
	v_cmp_lt_i16_e32 vcc, s0, v3
	s_mov_b64 s[0:1], 0
	s_and_saveexec_b64 s[6:7], vcc
	s_xor_b64 s[6:7], exec, s[6:7]
	s_cbranch_execz .LBB14_196
; %bb.174:
	s_movk_i32 s0, 0x80
	v_cmp_eq_u16_e32 vcc, s0, v3
	s_mov_b64 s[0:1], -1
	s_and_saveexec_b64 s[20:21], vcc
; %bb.175:
	s_xor_b64 s[0:1], exec, -1
; %bb.176:
	s_or_b64 exec, exec, s[20:21]
	s_and_b64 s[0:1], s[0:1], exec
	s_or_saveexec_b64 s[6:7], s[6:7]
	v_mov_b32_e32 v2, 0x7f800001
	s_xor_b64 exec, exec, s[6:7]
	s_cbranch_execnz .LBB14_197
.LBB14_177:
	s_or_b64 exec, exec, s[6:7]
	s_and_saveexec_b64 s[6:7], s[0:1]
	s_cbranch_execz .LBB14_179
.LBB14_178:
	v_lshlrev_b32_e32 v2, 24, v3
	v_and_b32_e32 v3, 0xffff, v3
	v_and_b32_e32 v4, 3, v3
	v_ffbh_u32_e32 v6, v4
	v_min_u32_e32 v6, 32, v6
	v_subrev_u32_e32 v7, 29, v6
	v_bfe_u32 v5, v3, 2, 5
	v_lshlrev_b32_e32 v3, v7, v3
	v_sub_u32_e32 v6, 30, v6
	v_and_b32_e32 v3, 3, v3
	v_cmp_eq_u32_e32 vcc, 0, v5
	v_cndmask_b32_e32 v5, v5, v6, vcc
	v_cndmask_b32_e32 v3, v4, v3, vcc
	v_mov_b32_e32 v4, 0x37800000
	v_lshlrev_b32_e32 v3, 21, v3
	v_and_b32_e32 v2, 0x80000000, v2
	v_lshl_add_u32 v4, v5, 23, v4
	v_or3_b32 v2, v2, v4, v3
.LBB14_179:
	s_or_b64 exec, exec, s[6:7]
	s_mov_b64 s[0:1], 0
	s_branch .LBB14_185
.LBB14_180:
	s_mov_b64 s[6:7], -1
                                        ; implicit-def: $vgpr2
	s_branch .LBB14_191
.LBB14_181:
	s_or_saveexec_b64 s[6:7], s[6:7]
	v_mov_b32_e32 v2, 0x7f800001
	s_xor_b64 exec, exec, s[6:7]
	s_cbranch_execz .LBB14_165
.LBB14_182:
	v_cmp_ne_u16_e32 vcc, 0, v3
	s_andn2_b64 s[0:1], s[0:1], exec
	s_and_b64 s[20:21], vcc, exec
	v_mov_b32_e32 v2, 0
	s_or_b64 s[0:1], s[0:1], s[20:21]
	s_or_b64 exec, exec, s[6:7]
	s_and_saveexec_b64 s[6:7], s[0:1]
	s_cbranch_execnz .LBB14_166
	s_branch .LBB14_167
.LBB14_183:
	s_mov_b64 s[0:1], -1
                                        ; implicit-def: $vgpr2
	s_branch .LBB14_188
.LBB14_184:
	s_mov_b64 s[0:1], -1
                                        ; implicit-def: $vgpr2
.LBB14_185:
	s_and_b64 vcc, exec, s[0:1]
	s_cbranch_vccz .LBB14_187
; %bb.186:
	global_load_ubyte v2, v[0:1], off
	s_mov_b32 s0, 0x7f800000
	s_waitcnt vmcnt(0)
	v_lshlrev_b32_e32 v2, 24, v2
	v_and_b32_e32 v3, 0x7f000000, v2
	v_ffbh_u32_e32 v4, v3
	v_min_u32_e32 v4, 32, v4
	v_sub_u32_e64 v4, v4, 4 clamp
	v_lshlrev_b32_e32 v6, v4, v3
	v_lshlrev_b32_e32 v4, 23, v4
	v_lshrrev_b32_e32 v6, 4, v6
	v_add_u32_e32 v5, 0x1000000, v3
	v_sub_u32_e32 v4, v6, v4
	v_ashrrev_i32_e32 v5, 8, v5
	v_add_u32_e32 v4, 0x3c000000, v4
	v_and_or_b32 v4, v5, s0, v4
	v_cmp_ne_u32_e32 vcc, 0, v3
	v_cndmask_b32_e32 v3, 0, v4, vcc
	s_brev_b32 s0, 1
	v_and_or_b32 v2, v2, s0, v3
.LBB14_187:
	s_mov_b64 s[0:1], 0
.LBB14_188:
	s_andn2_b64 vcc, exec, s[0:1]
	s_cbranch_vccnz .LBB14_190
; %bb.189:
	global_load_ubyte v2, v[0:1], off
	s_movk_i32 s0, 0x7f00
	s_brev_b32 s1, 16
	s_waitcnt vmcnt(0)
	v_lshlrev_b16_e32 v3, 8, v2
	v_lshlrev_b32_e32 v2, 25, v2
	v_lshrrev_b32_e32 v4, 4, v2
	v_and_or_b32 v5, v3, s0, 0.5
	v_or_b32_e32 v4, 0x70000000, v4
	v_add_f32_e32 v5, -0.5, v5
	v_mul_f32_e32 v4, 0x7800000, v4
	v_cmp_gt_u32_e32 vcc, s1, v2
	v_bfe_i32 v3, v3, 0, 16
	v_cndmask_b32_e32 v2, v4, v5, vcc
	s_brev_b32 s0, 1
	v_and_or_b32 v2, v3, s0, v2
.LBB14_190:
	s_mov_b64 s[6:7], 0
	s_mov_b64 s[0:1], -1
.LBB14_191:
	s_andn2_b64 vcc, exec, s[6:7]
	s_cbranch_vccnz .LBB14_204
; %bb.192:
	s_cmp_gt_i32 s24, 14
	s_cbranch_scc0 .LBB14_195
; %bb.193:
	s_cmp_eq_u32 s24, 15
	s_cbranch_scc0 .LBB14_198
; %bb.194:
	global_load_ushort v2, v[0:1], off
	s_mov_b64 s[0:1], -1
	s_mov_b64 s[16:17], 0
	s_waitcnt vmcnt(0)
	v_lshlrev_b32_e32 v2, 16, v2
	s_branch .LBB14_199
.LBB14_195:
	s_mov_b64 s[6:7], -1
                                        ; implicit-def: $vgpr2
	s_branch .LBB14_200
.LBB14_196:
	s_or_saveexec_b64 s[6:7], s[6:7]
	v_mov_b32_e32 v2, 0x7f800001
	s_xor_b64 exec, exec, s[6:7]
	s_cbranch_execz .LBB14_177
.LBB14_197:
	v_cmp_ne_u16_e32 vcc, 0, v3
	s_andn2_b64 s[0:1], s[0:1], exec
	s_and_b64 s[20:21], vcc, exec
	v_mov_b32_e32 v2, 0
	s_or_b64 s[0:1], s[0:1], s[20:21]
	s_or_b64 exec, exec, s[6:7]
	s_and_saveexec_b64 s[6:7], s[0:1]
	s_cbranch_execnz .LBB14_178
	s_branch .LBB14_179
.LBB14_198:
	s_mov_b64 s[16:17], -1
                                        ; implicit-def: $vgpr2
.LBB14_199:
	s_mov_b64 s[6:7], 0
.LBB14_200:
	s_and_b64 vcc, exec, s[6:7]
	s_cbranch_vccz .LBB14_204
; %bb.201:
	s_cmp_eq_u32 s24, 11
	s_cbranch_scc0 .LBB14_203
; %bb.202:
	global_load_ubyte v2, v[0:1], off
	s_mov_b64 s[0:1], -1
	s_mov_b64 s[16:17], 0
	s_waitcnt vmcnt(0)
	v_cmp_ne_u16_e32 vcc, 0, v2
	v_cndmask_b32_e64 v2, 0, 1.0, vcc
	s_branch .LBB14_204
.LBB14_203:
	s_mov_b64 s[16:17], -1
                                        ; implicit-def: $vgpr2
.LBB14_204:
	s_branch .LBB14_10
.LBB14_205:
	s_cmp_lt_i32 s24, 5
	s_cbranch_scc1 .LBB14_210
; %bb.206:
	s_cmp_lt_i32 s24, 8
	s_cbranch_scc1 .LBB14_211
; %bb.207:
	;; [unrolled: 3-line block ×3, first 2 shown]
	s_cmp_gt_i32 s24, 9
	s_cbranch_scc0 .LBB14_213
; %bb.209:
	global_load_dwordx2 v[2:3], v[0:1], off
	s_mov_b64 s[0:1], 0
	s_waitcnt vmcnt(0)
	v_cvt_f32_f64_e32 v2, v[2:3]
	s_branch .LBB14_214
.LBB14_210:
                                        ; implicit-def: $vgpr2
	s_branch .LBB14_232
.LBB14_211:
	s_mov_b64 s[0:1], -1
                                        ; implicit-def: $vgpr2
	s_branch .LBB14_220
.LBB14_212:
	s_mov_b64 s[0:1], -1
                                        ; implicit-def: $vgpr2
	s_branch .LBB14_217
.LBB14_213:
	s_mov_b64 s[0:1], -1
                                        ; implicit-def: $vgpr2
.LBB14_214:
	s_andn2_b64 vcc, exec, s[0:1]
	s_cbranch_vccnz .LBB14_216
; %bb.215:
	global_load_dword v2, v[0:1], off
.LBB14_216:
	s_mov_b64 s[0:1], 0
.LBB14_217:
	s_andn2_b64 vcc, exec, s[0:1]
	s_cbranch_vccnz .LBB14_219
; %bb.218:
	global_load_dword v2, v[0:1], off
	s_waitcnt vmcnt(0)
	v_cvt_f32_f16_e32 v2, v2
.LBB14_219:
	s_mov_b64 s[0:1], 0
.LBB14_220:
	s_andn2_b64 vcc, exec, s[0:1]
	s_cbranch_vccnz .LBB14_231
; %bb.221:
	s_cmp_lt_i32 s24, 6
	s_cbranch_scc1 .LBB14_224
; %bb.222:
	s_cmp_gt_i32 s24, 6
	s_cbranch_scc0 .LBB14_225
; %bb.223:
	global_load_dwordx2 v[2:3], v[0:1], off
	s_mov_b64 s[0:1], 0
	s_waitcnt vmcnt(0)
	v_cvt_f32_f64_e32 v2, v[2:3]
	s_branch .LBB14_226
.LBB14_224:
	s_mov_b64 s[0:1], -1
                                        ; implicit-def: $vgpr2
	s_branch .LBB14_229
.LBB14_225:
	s_mov_b64 s[0:1], -1
                                        ; implicit-def: $vgpr2
.LBB14_226:
	s_andn2_b64 vcc, exec, s[0:1]
	s_cbranch_vccnz .LBB14_228
; %bb.227:
	global_load_dword v2, v[0:1], off
.LBB14_228:
	s_mov_b64 s[0:1], 0
.LBB14_229:
	s_andn2_b64 vcc, exec, s[0:1]
	s_cbranch_vccnz .LBB14_231
; %bb.230:
	global_load_ushort v2, v[0:1], off
	s_waitcnt vmcnt(0)
	v_cvt_f32_f16_e32 v2, v2
.LBB14_231:
	s_cbranch_execnz .LBB14_251
.LBB14_232:
	s_cmp_lt_i32 s24, 2
	s_cbranch_scc1 .LBB14_236
; %bb.233:
	s_cmp_lt_i32 s24, 3
	s_cbranch_scc1 .LBB14_237
; %bb.234:
	s_cmp_gt_i32 s24, 3
	s_cbranch_scc0 .LBB14_238
; %bb.235:
	global_load_dwordx2 v[2:3], v[0:1], off
	s_mov_b64 s[0:1], 0
	s_waitcnt vmcnt(0)
	v_xor_b32_e32 v5, v2, v3
	v_ffbh_i32_e32 v4, v3
	v_ashrrev_i32_e32 v5, 31, v5
	v_add_u32_e32 v4, -1, v4
	v_add_u32_e32 v5, 32, v5
	v_min_u32_e32 v4, v4, v5
	v_lshlrev_b64 v[2:3], v4, v[2:3]
	v_min_u32_e32 v2, 1, v2
	v_or_b32_e32 v2, v3, v2
	v_cvt_f32_i32_e32 v2, v2
	v_sub_u32_e32 v3, 32, v4
	v_ldexp_f32 v2, v2, v3
	s_branch .LBB14_239
.LBB14_236:
	s_mov_b64 s[0:1], -1
                                        ; implicit-def: $vgpr2
	s_branch .LBB14_245
.LBB14_237:
	s_mov_b64 s[0:1], -1
                                        ; implicit-def: $vgpr2
	s_branch .LBB14_242
.LBB14_238:
	s_mov_b64 s[0:1], -1
                                        ; implicit-def: $vgpr2
.LBB14_239:
	s_andn2_b64 vcc, exec, s[0:1]
	s_cbranch_vccnz .LBB14_241
; %bb.240:
	global_load_dword v2, v[0:1], off
	s_waitcnt vmcnt(0)
	v_cvt_f32_i32_e32 v2, v2
.LBB14_241:
	s_mov_b64 s[0:1], 0
.LBB14_242:
	s_andn2_b64 vcc, exec, s[0:1]
	s_cbranch_vccnz .LBB14_244
; %bb.243:
	global_load_sshort v2, v[0:1], off
	s_waitcnt vmcnt(0)
	v_cvt_f32_i32_e32 v2, v2
.LBB14_244:
	s_mov_b64 s[0:1], 0
.LBB14_245:
	s_andn2_b64 vcc, exec, s[0:1]
	s_cbranch_vccnz .LBB14_251
; %bb.246:
	s_cmp_gt_i32 s24, 0
	s_cbranch_scc0 .LBB14_248
; %bb.247:
	global_load_sbyte v2, v[0:1], off
	s_mov_b64 s[0:1], 0
	s_waitcnt vmcnt(0)
	v_cvt_f32_i32_e32 v2, v2
	s_branch .LBB14_249
.LBB14_248:
	s_mov_b64 s[0:1], -1
                                        ; implicit-def: $vgpr2
.LBB14_249:
	s_andn2_b64 vcc, exec, s[0:1]
	s_cbranch_vccnz .LBB14_251
; %bb.250:
	global_load_ubyte v0, v[0:1], off
	s_waitcnt vmcnt(0)
	v_cvt_f32_ubyte0_e32 v2, v0
.LBB14_251:
	s_branch .LBB14_11
.LBB14_252:
	s_mov_b64 s[0:1], 0
                                        ; implicit-def: $vgpr8
	s_mov_b64 s[20:21], 0
.LBB14_253:
	s_and_b64 s[6:7], s[0:1], exec
	s_and_b64 s[16:17], s[16:17], exec
	s_orn2_b64 s[20:21], s[20:21], exec
.LBB14_254:
	s_or_b64 exec, exec, s[18:19]
	s_mov_b64 s[24:25], 0
	s_mov_b64 s[0:1], 0
                                        ; implicit-def: $vgpr0_vgpr1
                                        ; implicit-def: $vgpr4
	s_and_saveexec_b64 s[18:19], s[20:21]
	s_cbranch_execz .LBB14_263
; %bb.255:
	v_cmp_gt_i32_e32 vcc, s40, v8
	s_mov_b64 s[0:1], -1
	s_mov_b64 s[20:21], s[16:17]
	s_mov_b64 s[22:23], s[6:7]
	s_and_saveexec_b64 s[24:25], vcc
	s_cbranch_execz .LBB14_517
; %bb.256:
	v_mul_lo_u32 v0, v8, s13
	v_mov_b32_e32 v1, s11
	s_and_b32 s28, 0xffff, s15
	s_cmp_lt_i32 s28, 11
	s_waitcnt vmcnt(0)
	v_ashrrev_i32_e32 v2, 31, v0
	v_add_co_u32_e32 v0, vcc, s10, v0
	v_addc_co_u32_e32 v1, vcc, v1, v2, vcc
	s_cbranch_scc1 .LBB14_266
; %bb.257:
	s_cmp_gt_i32 s28, 25
	s_cbranch_scc0 .LBB14_277
; %bb.258:
	s_cmp_gt_i32 s28, 28
	s_cbranch_scc0 .LBB14_279
	;; [unrolled: 3-line block ×4, first 2 shown]
; %bb.261:
	s_cmp_eq_u32 s28, 46
	s_mov_b64 s[22:23], 0
	s_cbranch_scc0 .LBB14_289
; %bb.262:
	global_load_dword v2, v[0:1], off
	s_mov_b64 s[20:21], 0
	s_waitcnt vmcnt(0)
	v_lshlrev_b32_e32 v2, 16, v2
	s_branch .LBB14_290
.LBB14_263:
	s_or_b64 exec, exec, s[18:19]
	s_mov_b64 s[18:19], 0
	s_and_saveexec_b64 s[20:21], s[16:17]
	s_cbranch_execnz .LBB14_865
.LBB14_264:
	s_or_b64 exec, exec, s[20:21]
	s_and_saveexec_b64 s[16:17], s[22:23]
	s_xor_b64 s[16:17], exec, s[16:17]
	s_cbranch_execz .LBB14_866
.LBB14_265:
	global_load_ubyte v2, v[0:1], off
	s_or_b64 s[0:1], s[0:1], exec
	s_waitcnt vmcnt(0)
	v_cmp_ne_u16_e32 vcc, 0, v2
	v_cndmask_b32_e64 v4, 0, 1.0, vcc
	s_or_b64 exec, exec, s[16:17]
	s_and_saveexec_b64 s[16:17], s[24:25]
	s_cbranch_execz .LBB14_912
	s_branch .LBB14_867
.LBB14_266:
	s_mov_b64 s[0:1], 0
                                        ; implicit-def: $vgpr2
	s_mov_b64 s[20:21], s[16:17]
	s_cbranch_execnz .LBB14_467
.LBB14_267:
	s_andn2_b64 vcc, exec, s[0:1]
	s_cbranch_vccnz .LBB14_515
.LBB14_268:
	s_waitcnt vmcnt(0)
	v_cmp_lt_f32_e32 vcc, s14, v2
	v_mov_b32_e32 v0, 1.0
	s_and_saveexec_b64 s[0:1], vcc
	s_cbranch_execz .LBB14_270
; %bb.269:
	v_add_f32_e32 v0, 0x33d6bf95, v2
	v_div_scale_f32 v1, s[22:23], v0, v0, s14
	v_div_scale_f32 v2, vcc, s14, v0, s14
	v_rcp_f32_e32 v3, v1
	v_fma_f32 v4, -v1, v3, 1.0
	v_fmac_f32_e32 v3, v4, v3
	v_mul_f32_e32 v4, v2, v3
	v_fma_f32 v5, -v1, v4, v2
	v_fmac_f32_e32 v4, v5, v3
	v_fma_f32 v1, -v1, v4, v2
	v_div_fmas_f32 v1, v1, v3, v4
	v_div_fixup_f32 v0, v1, v0, s14
.LBB14_270:
	s_or_b64 exec, exec, s[0:1]
	v_mul_lo_u32 v1, v8, s12
	v_mov_b32_e32 v3, s9
	s_and_b32 s30, s33, 0xff
	s_cmp_lt_i32 s30, 11
	v_ashrrev_i32_e32 v4, 31, v1
	v_add_co_u32_e32 v2, vcc, s8, v1
	v_addc_co_u32_e32 v3, vcc, v3, v4, vcc
	s_cbranch_scc1 .LBB14_278
; %bb.271:
	s_and_b32 s31, 0xffff, s30
	s_cmp_gt_i32 s31, 25
	s_cbranch_scc0 .LBB14_280
; %bb.272:
	s_cmp_gt_i32 s31, 28
	s_cbranch_scc0 .LBB14_282
; %bb.273:
	;; [unrolled: 3-line block ×4, first 2 shown]
	s_mov_b64 s[26:27], 0
	s_mov_b64 s[0:1], -1
	s_cmp_eq_u32 s31, 46
	s_mov_b64 s[22:23], 0
	s_cbranch_scc0 .LBB14_294
; %bb.276:
	v_bfe_u32 v1, v0, 16, 1
	s_movk_i32 s0, 0x7fff
	v_add3_u32 v1, v0, v1, s0
	v_cmp_o_f32_e32 vcc, v0, v0
	v_mov_b32_e32 v4, 0x7fc0
	v_cndmask_b32_sdwa v1, v4, v1, vcc dst_sel:DWORD dst_unused:UNUSED_PAD src0_sel:DWORD src1_sel:WORD_1
	global_store_dword v[2:3], v1, off
	s_mov_b64 s[22:23], -1
	s_mov_b64 s[0:1], 0
	s_branch .LBB14_294
.LBB14_277:
	s_mov_b64 s[22:23], -1
	s_mov_b64 s[0:1], 0
	s_mov_b64 s[20:21], s[16:17]
                                        ; implicit-def: $vgpr2
	s_branch .LBB14_431
.LBB14_278:
	s_mov_b64 s[26:27], -1
	s_mov_b64 s[22:23], 0
	s_mov_b64 s[0:1], s[6:7]
	s_branch .LBB14_363
.LBB14_279:
	s_mov_b64 s[22:23], -1
	s_mov_b64 s[0:1], 0
	s_mov_b64 s[20:21], s[16:17]
                                        ; implicit-def: $vgpr2
	s_branch .LBB14_412
.LBB14_280:
	s_mov_b64 s[26:27], -1
	s_mov_b64 s[22:23], 0
	s_mov_b64 s[0:1], s[6:7]
	s_branch .LBB14_321
.LBB14_281:
	s_mov_b64 s[22:23], -1
	s_mov_b64 s[0:1], 0
	s_mov_b64 s[20:21], s[16:17]
                                        ; implicit-def: $vgpr2
	s_branch .LBB14_407
.LBB14_282:
	s_mov_b64 s[26:27], -1
	s_mov_b64 s[22:23], 0
	s_mov_b64 s[0:1], s[6:7]
	s_branch .LBB14_304
.LBB14_283:
	s_andn2_saveexec_b64 s[24:25], s[24:25]
	s_cbranch_execz .LBB14_57
.LBB14_284:
	s_mov_b32 s28, 0x46000000
	v_add_f32_e64 v1, |v0|, s28
	v_and_b32_e32 v1, 0xff, v1
	v_cmp_ne_u32_e32 vcc, 0, v1
	s_andn2_b64 s[20:21], s[20:21], exec
	s_and_b64 s[28:29], vcc, exec
	s_or_b64 s[20:21], s[20:21], s[28:29]
	s_or_b64 exec, exec, s[24:25]
	v_mov_b32_e32 v4, 0
	s_and_saveexec_b64 s[24:25], s[20:21]
	s_cbranch_execnz .LBB14_58
	s_branch .LBB14_59
.LBB14_285:
	s_mov_b64 s[22:23], -1
	s_mov_b64 s[0:1], 0
	s_mov_b64 s[20:21], s[16:17]
                                        ; implicit-def: $vgpr2
	s_branch .LBB14_290
.LBB14_286:
	s_mov_b64 s[26:27], -1
	s_mov_b64 s[22:23], 0
	s_mov_b64 s[0:1], s[6:7]
	s_branch .LBB14_300
.LBB14_287:
	s_andn2_saveexec_b64 s[24:25], s[24:25]
	s_cbranch_execz .LBB14_70
.LBB14_288:
	s_mov_b32 s28, 0x42800000
	v_add_f32_e64 v1, |v0|, s28
	v_and_b32_e32 v1, 0xff, v1
	v_cmp_ne_u32_e32 vcc, 0, v1
	s_andn2_b64 s[20:21], s[20:21], exec
	s_and_b64 s[28:29], vcc, exec
	s_or_b64 s[20:21], s[20:21], s[28:29]
	s_or_b64 exec, exec, s[24:25]
	v_mov_b32_e32 v4, 0
	s_and_saveexec_b64 s[24:25], s[20:21]
	s_cbranch_execnz .LBB14_71
	s_branch .LBB14_72
.LBB14_289:
	s_mov_b64 s[20:21], -1
                                        ; implicit-def: $vgpr2
	s_mov_b64 s[0:1], 0
.LBB14_290:
	s_and_b64 vcc, exec, s[22:23]
	s_cbranch_vccz .LBB14_406
; %bb.291:
	s_cmp_eq_u32 s28, 44
	s_cbranch_scc0 .LBB14_405
; %bb.292:
	global_load_ubyte v2, v[0:1], off
	s_movk_i32 s20, 0xff
	v_mov_b32_e32 v3, 0x7f800001
	v_mov_b32_e32 v4, 0x400000
	s_mov_b64 s[0:1], -1
	s_waitcnt vmcnt(0)
	v_lshlrev_b32_e32 v5, 23, v2
	v_cmp_ne_u32_e32 vcc, s20, v2
	v_cndmask_b32_e32 v3, v3, v5, vcc
	v_cmp_ne_u32_e32 vcc, 0, v2
	v_cndmask_b32_e32 v2, v4, v3, vcc
	s_mov_b64 s[20:21], 0
	s_branch .LBB14_406
.LBB14_293:
	s_mov_b64 s[26:27], -1
	s_mov_b64 s[22:23], 0
	s_mov_b64 s[0:1], s[6:7]
.LBB14_294:
	s_and_b64 vcc, exec, s[26:27]
	s_cbranch_vccz .LBB14_299
; %bb.295:
	s_cmp_eq_u32 s31, 44
	s_mov_b64 s[0:1], -1
	s_cbranch_scc0 .LBB14_299
; %bb.296:
	v_bfe_u32 v1, v0, 23, 8
	s_movk_i32 s0, 0xff
	v_cmp_ne_u32_e32 vcc, s0, v1
	v_mov_b32_e32 v4, 0xff
	s_and_saveexec_b64 s[22:23], vcc
; %bb.297:
	s_mov_b32 s0, 0x3fffff
	v_and_b32_e32 v5, 0x400000, v0
	v_and_or_b32 v1, v0, s0, v1
	v_cmp_ne_u32_e32 vcc, 0, v5
	v_cmp_ne_u32_e64 s[0:1], 0, v1
	s_and_b64 s[0:1], vcc, s[0:1]
	v_lshrrev_b32_e32 v4, 23, v0
	v_cndmask_b32_e64 v1, 0, 1, s[0:1]
	v_add_u32_e32 v4, v4, v1
; %bb.298:
	s_or_b64 exec, exec, s[22:23]
	s_mov_b64 s[22:23], -1
	s_mov_b64 s[0:1], 0
	global_store_byte v[2:3], v4, off
.LBB14_299:
	s_mov_b64 s[26:27], 0
.LBB14_300:
	s_and_b64 vcc, exec, s[26:27]
	s_cbranch_vccz .LBB14_303
; %bb.301:
	s_cmp_eq_u32 s31, 29
	s_mov_b64 s[0:1], -1
	s_cbranch_scc0 .LBB14_303
; %bb.302:
	v_trunc_f32_e32 v1, v0
	v_mul_f32_e32 v4, 0x2f800000, v1
	v_floor_f32_e32 v4, v4
	v_fmac_f32_e32 v1, 0xcf800000, v4
	v_cvt_u32_f32_e32 v5, v4
	v_cvt_u32_f32_e32 v4, v1
	s_mov_b64 s[22:23], -1
	s_mov_b64 s[0:1], 0
	s_mov_b64 s[26:27], 0
	global_store_dwordx2 v[2:3], v[4:5], off
	s_branch .LBB14_304
.LBB14_303:
	s_mov_b64 s[26:27], 0
.LBB14_304:
	s_and_b64 vcc, exec, s[26:27]
	s_cbranch_vccz .LBB14_320
; %bb.305:
	s_cmp_lt_i32 s31, 27
	s_mov_b64 s[22:23], -1
	s_cbranch_scc1 .LBB14_311
; %bb.306:
	v_cvt_u32_f32_e32 v1, v0
	s_cmp_gt_i32 s31, 27
	s_cbranch_scc0 .LBB14_308
; %bb.307:
	s_mov_b64 s[22:23], 0
	global_store_dword v[2:3], v1, off
.LBB14_308:
	s_andn2_b64 vcc, exec, s[22:23]
	s_cbranch_vccnz .LBB14_310
; %bb.309:
	global_store_short v[2:3], v1, off
.LBB14_310:
	s_mov_b64 s[22:23], 0
.LBB14_311:
	s_andn2_b64 vcc, exec, s[22:23]
	s_cbranch_vccnz .LBB14_319
; %bb.312:
	v_and_b32_e32 v1, 0x7fffffff, v0
	s_mov_b32 s22, 0x43800000
	v_cmp_gt_u32_e32 vcc, s22, v1
	v_mov_b32_e32 v4, 0x80
	s_and_saveexec_b64 s[22:23], vcc
	s_cbranch_execz .LBB14_318
; %bb.313:
	s_mov_b32 s26, 0x3bffffff
	v_cmp_lt_u32_e32 vcc, s26, v1
	s_mov_b64 s[26:27], 0
                                        ; implicit-def: $vgpr1
	s_and_saveexec_b64 s[28:29], vcc
	s_xor_b64 s[28:29], exec, s[28:29]
	s_cbranch_execz .LBB14_530
; %bb.314:
	v_bfe_u32 v1, v0, 20, 1
	s_mov_b32 s34, 0x487ffff
	v_add3_u32 v1, v0, v1, s34
	s_mov_b64 s[26:27], exec
	v_lshrrev_b32_e32 v1, 20, v1
	s_andn2_saveexec_b64 s[28:29], s[28:29]
	s_cbranch_execnz .LBB14_531
.LBB14_315:
	s_or_b64 exec, exec, s[28:29]
	v_mov_b32_e32 v4, 0
	s_and_saveexec_b64 s[28:29], s[26:27]
.LBB14_316:
	v_lshrrev_b32_e32 v4, 24, v0
	s_movk_i32 s26, 0x80
	v_and_or_b32 v4, v4, s26, v1
.LBB14_317:
	s_or_b64 exec, exec, s[28:29]
.LBB14_318:
	s_or_b64 exec, exec, s[22:23]
	global_store_byte v[2:3], v4, off
.LBB14_319:
	s_mov_b64 s[22:23], -1
.LBB14_320:
	s_mov_b64 s[26:27], 0
.LBB14_321:
	s_and_b64 vcc, exec, s[26:27]
	s_cbranch_vccz .LBB14_362
; %bb.322:
	s_cmp_gt_i32 s31, 22
	s_mov_b64 s[26:27], -1
	s_cbranch_scc0 .LBB14_354
; %bb.323:
	s_cmp_lt_i32 s31, 24
	s_mov_b64 s[22:23], -1
	s_cbranch_scc1 .LBB14_343
; %bb.324:
	s_cmp_gt_i32 s31, 24
	s_cbranch_scc0 .LBB14_332
; %bb.325:
	v_and_b32_e32 v1, 0x7fffffff, v0
	s_mov_b32 s22, 0x47800000
	v_cmp_gt_u32_e32 vcc, s22, v1
	v_mov_b32_e32 v4, 0x80
	s_and_saveexec_b64 s[22:23], vcc
	s_cbranch_execz .LBB14_331
; %bb.326:
	s_mov_b32 s26, 0x37ffffff
	v_cmp_lt_u32_e32 vcc, s26, v1
	s_mov_b64 s[26:27], 0
                                        ; implicit-def: $vgpr1
	s_and_saveexec_b64 s[28:29], vcc
	s_xor_b64 s[28:29], exec, s[28:29]
	s_cbranch_execz .LBB14_533
; %bb.327:
	v_bfe_u32 v1, v0, 21, 1
	s_mov_b32 s34, 0x88fffff
	v_add3_u32 v1, v0, v1, s34
	s_mov_b64 s[26:27], exec
	v_lshrrev_b32_e32 v1, 21, v1
	s_andn2_saveexec_b64 s[28:29], s[28:29]
	s_cbranch_execnz .LBB14_534
.LBB14_328:
	s_or_b64 exec, exec, s[28:29]
	v_mov_b32_e32 v4, 0
	s_and_saveexec_b64 s[28:29], s[26:27]
.LBB14_329:
	v_lshrrev_b32_e32 v4, 24, v0
	s_movk_i32 s26, 0x80
	v_and_or_b32 v4, v4, s26, v1
.LBB14_330:
	s_or_b64 exec, exec, s[28:29]
.LBB14_331:
	s_or_b64 exec, exec, s[22:23]
	s_mov_b64 s[22:23], 0
	global_store_byte v[2:3], v4, off
.LBB14_332:
	s_and_b64 vcc, exec, s[22:23]
	s_cbranch_vccz .LBB14_342
; %bb.333:
	v_and_b32_e32 v4, 0x7fffffff, v0
	s_mov_b32 s22, 0x43f00000
	v_cmp_gt_u32_e32 vcc, s22, v4
                                        ; implicit-def: $vgpr1
	s_and_saveexec_b64 s[22:23], vcc
	s_xor_b64 s[22:23], exec, s[22:23]
	s_cbranch_execz .LBB14_339
; %bb.334:
	s_mov_b32 s26, 0x3c7fffff
	v_cmp_lt_u32_e32 vcc, s26, v4
                                        ; implicit-def: $vgpr1
	s_and_saveexec_b64 s[26:27], vcc
	s_xor_b64 s[26:27], exec, s[26:27]
; %bb.335:
	v_bfe_u32 v1, v0, 20, 1
	s_mov_b32 s28, 0x407ffff
	v_add3_u32 v1, v0, v1, s28
	v_lshrrev_b32_e32 v4, 20, v1
	v_and_b32_e32 v1, 0xff00000, v1
	s_mov_b32 s28, 0x7f00000
	v_mov_b32_e32 v5, 0x7e
	v_cmp_ne_u32_e32 vcc, s28, v1
	v_cndmask_b32_e32 v1, v5, v4, vcc
; %bb.336:
	s_andn2_saveexec_b64 s[26:27], s[26:27]
; %bb.337:
	s_mov_b32 s28, 0x46800000
	v_add_f32_e64 v1, |v0|, s28
; %bb.338:
	s_or_b64 exec, exec, s[26:27]
                                        ; implicit-def: $vgpr4
.LBB14_339:
	s_andn2_saveexec_b64 s[22:23], s[22:23]
; %bb.340:
	s_mov_b32 s26, 0x7f800000
	v_mov_b32_e32 v1, 0x7e
	v_mov_b32_e32 v5, 0x7f
	v_cmp_lt_u32_e32 vcc, s26, v4
	v_cndmask_b32_e32 v1, v1, v5, vcc
; %bb.341:
	s_or_b64 exec, exec, s[22:23]
	v_lshrrev_b32_e32 v4, 24, v0
	s_movk_i32 s22, 0x80
	v_and_or_b32 v1, v4, s22, v1
	global_store_byte v[2:3], v1, off
.LBB14_342:
	s_mov_b64 s[22:23], 0
.LBB14_343:
	s_andn2_b64 vcc, exec, s[22:23]
	s_cbranch_vccnz .LBB14_353
; %bb.344:
	v_and_b32_e32 v4, 0x7fffffff, v0
	s_mov_b32 s22, 0x47800000
	v_cmp_gt_u32_e32 vcc, s22, v4
                                        ; implicit-def: $vgpr1
	s_and_saveexec_b64 s[22:23], vcc
	s_xor_b64 s[22:23], exec, s[22:23]
	s_cbranch_execz .LBB14_350
; %bb.345:
	s_mov_b32 s26, 0x387fffff
	v_cmp_lt_u32_e32 vcc, s26, v4
                                        ; implicit-def: $vgpr1
	s_and_saveexec_b64 s[26:27], vcc
	s_xor_b64 s[26:27], exec, s[26:27]
; %bb.346:
	v_bfe_u32 v1, v0, 21, 1
	s_mov_b32 s28, 0x80fffff
	v_add3_u32 v1, v0, v1, s28
	v_lshrrev_b32_e32 v1, 21, v1
; %bb.347:
	s_andn2_saveexec_b64 s[26:27], s[26:27]
; %bb.348:
	s_mov_b32 s28, 0x43000000
	v_add_f32_e64 v1, |v0|, s28
; %bb.349:
	s_or_b64 exec, exec, s[26:27]
                                        ; implicit-def: $vgpr4
.LBB14_350:
	s_andn2_saveexec_b64 s[22:23], s[22:23]
; %bb.351:
	s_mov_b32 s26, 0x7f800000
	v_mov_b32_e32 v1, 0x7c
	v_mov_b32_e32 v5, 0x7f
	v_cmp_lt_u32_e32 vcc, s26, v4
	v_cndmask_b32_e32 v1, v1, v5, vcc
; %bb.352:
	s_or_b64 exec, exec, s[22:23]
	v_lshrrev_b32_e32 v4, 24, v0
	s_movk_i32 s22, 0x80
	v_and_or_b32 v1, v4, s22, v1
	global_store_byte v[2:3], v1, off
.LBB14_353:
	s_mov_b64 s[26:27], 0
	s_mov_b64 s[22:23], -1
.LBB14_354:
	s_andn2_b64 vcc, exec, s[26:27]
	s_cbranch_vccnz .LBB14_362
; %bb.355:
	s_cmp_gt_i32 s31, 14
	s_mov_b64 s[26:27], -1
	s_cbranch_scc0 .LBB14_359
; %bb.356:
	s_cmp_eq_u32 s31, 15
	s_mov_b64 s[0:1], -1
	s_cbranch_scc0 .LBB14_358
; %bb.357:
	v_bfe_u32 v1, v0, 16, 1
	s_movk_i32 s0, 0x7fff
	v_add3_u32 v1, v0, v1, s0
	v_cmp_o_f32_e32 vcc, v0, v0
	v_mov_b32_e32 v4, 0x7fc0
	v_cndmask_b32_sdwa v1, v4, v1, vcc dst_sel:DWORD dst_unused:UNUSED_PAD src0_sel:DWORD src1_sel:WORD_1
	global_store_short v[2:3], v1, off
	s_mov_b64 s[22:23], -1
	s_mov_b64 s[0:1], 0
.LBB14_358:
	s_mov_b64 s[26:27], 0
.LBB14_359:
	s_and_b64 vcc, exec, s[26:27]
	s_cbranch_vccz .LBB14_362
; %bb.360:
	s_cmp_eq_u32 s31, 11
	s_mov_b64 s[0:1], -1
	s_cbranch_scc0 .LBB14_362
; %bb.361:
	v_cmp_neq_f32_e32 vcc, 0, v0
	v_cndmask_b32_e64 v1, 0, 1, vcc
	s_mov_b64 s[22:23], -1
	s_mov_b64 s[0:1], 0
	global_store_byte v[2:3], v1, off
.LBB14_362:
	s_mov_b64 s[26:27], 0
.LBB14_363:
	s_and_b64 vcc, exec, s[26:27]
	s_cbranch_vccz .LBB14_402
; %bb.364:
	s_and_b32 s26, 0xffff, s30
	s_cmp_lt_i32 s26, 5
	s_mov_b64 s[22:23], -1
	s_cbranch_scc1 .LBB14_385
; %bb.365:
	s_cmp_lt_i32 s26, 8
	s_cbranch_scc1 .LBB14_375
; %bb.366:
	s_cmp_lt_i32 s26, 9
	s_cbranch_scc1 .LBB14_372
; %bb.367:
	s_cmp_gt_i32 s26, 9
	s_cbranch_scc0 .LBB14_369
; %bb.368:
	v_cvt_f64_f32_e32 v[4:5], v0
	v_mov_b32_e32 v6, 0
	v_mov_b32_e32 v7, v6
	s_mov_b64 s[22:23], 0
	global_store_dwordx4 v[2:3], v[4:7], off
.LBB14_369:
	s_andn2_b64 vcc, exec, s[22:23]
	s_cbranch_vccnz .LBB14_371
; %bb.370:
	v_mov_b32_e32 v1, 0
	global_store_dwordx2 v[2:3], v[0:1], off
.LBB14_371:
	s_mov_b64 s[22:23], 0
.LBB14_372:
	s_andn2_b64 vcc, exec, s[22:23]
	s_cbranch_vccnz .LBB14_374
; %bb.373:
	v_cvt_f16_f32_e32 v1, v0
	global_store_dword v[2:3], v1, off
.LBB14_374:
	s_mov_b64 s[22:23], 0
.LBB14_375:
	s_andn2_b64 vcc, exec, s[22:23]
	s_cbranch_vccnz .LBB14_384
; %bb.376:
	s_cmp_lt_i32 s26, 6
	s_mov_b64 s[22:23], -1
	s_cbranch_scc1 .LBB14_382
; %bb.377:
	s_cmp_gt_i32 s26, 6
	s_cbranch_scc0 .LBB14_379
; %bb.378:
	v_cvt_f64_f32_e32 v[4:5], v0
	s_mov_b64 s[22:23], 0
	global_store_dwordx2 v[2:3], v[4:5], off
.LBB14_379:
	s_andn2_b64 vcc, exec, s[22:23]
	s_cbranch_vccnz .LBB14_381
; %bb.380:
	global_store_dword v[2:3], v0, off
.LBB14_381:
	s_mov_b64 s[22:23], 0
.LBB14_382:
	s_andn2_b64 vcc, exec, s[22:23]
	s_cbranch_vccnz .LBB14_384
; %bb.383:
	v_cvt_f16_f32_e32 v1, v0
	global_store_short v[2:3], v1, off
.LBB14_384:
	s_mov_b64 s[22:23], 0
.LBB14_385:
	s_andn2_b64 vcc, exec, s[22:23]
	s_cbranch_vccnz .LBB14_401
; %bb.386:
	s_cmp_lt_i32 s26, 2
	s_mov_b64 s[22:23], -1
	s_cbranch_scc1 .LBB14_396
; %bb.387:
	s_cmp_lt_i32 s26, 3
	s_cbranch_scc1 .LBB14_393
; %bb.388:
	s_cmp_gt_i32 s26, 3
	s_cbranch_scc0 .LBB14_390
; %bb.389:
	v_trunc_f32_e32 v1, v0
	s_mov_b32 s22, 0x2f800000
	v_mul_f32_e64 v4, |v1|, s22
	v_floor_f32_e32 v4, v4
	s_mov_b32 s22, 0xcf800000
	v_cvt_u32_f32_e32 v5, v4
	v_fma_f32 v4, v4, s22, |v1|
	v_cvt_u32_f32_e32 v4, v4
	v_ashrrev_i32_e32 v1, 31, v1
	v_xor_b32_e32 v5, v5, v1
	s_mov_b64 s[22:23], 0
	v_xor_b32_e32 v4, v4, v1
	v_sub_co_u32_e32 v4, vcc, v4, v1
	v_subb_co_u32_e32 v5, vcc, v5, v1, vcc
	global_store_dwordx2 v[2:3], v[4:5], off
.LBB14_390:
	s_andn2_b64 vcc, exec, s[22:23]
	s_cbranch_vccnz .LBB14_392
; %bb.391:
	v_cvt_i32_f32_e32 v1, v0
	global_store_dword v[2:3], v1, off
.LBB14_392:
	s_mov_b64 s[22:23], 0
.LBB14_393:
	s_andn2_b64 vcc, exec, s[22:23]
	s_cbranch_vccnz .LBB14_395
; %bb.394:
	v_cvt_i32_f32_e32 v1, v0
	global_store_short v[2:3], v1, off
.LBB14_395:
	s_mov_b64 s[22:23], 0
.LBB14_396:
	s_andn2_b64 vcc, exec, s[22:23]
	s_cbranch_vccnz .LBB14_401
; %bb.397:
	s_cmp_gt_i32 s26, 0
	s_mov_b64 s[22:23], -1
	s_cbranch_scc0 .LBB14_399
; %bb.398:
	v_cvt_i32_f32_e32 v1, v0
	s_mov_b64 s[22:23], 0
	global_store_byte v[2:3], v1, off
.LBB14_399:
	s_andn2_b64 vcc, exec, s[22:23]
	s_cbranch_vccnz .LBB14_401
; %bb.400:
	v_trunc_f32_e32 v0, v0
	s_mov_b32 s22, 0x2f800000
	v_mul_f32_e64 v1, |v0|, s22
	v_floor_f32_e32 v1, v1
	s_mov_b32 s22, 0xcf800000
	v_fma_f32 v1, v1, s22, |v0|
	v_cvt_u32_f32_e32 v1, v1
	v_ashrrev_i32_e32 v0, 31, v0
	v_xor_b32_e32 v1, v1, v0
	v_sub_u32_e32 v0, v1, v0
	global_store_byte v[2:3], v0, off
.LBB14_401:
	s_mov_b64 s[22:23], -1
.LBB14_402:
	s_andn2_b64 vcc, exec, s[22:23]
	s_cbranch_vccnz .LBB14_404
; %bb.403:
	v_add_u32_e32 v8, 0x80, v8
	s_mov_b64 s[26:27], -1
	s_branch .LBB14_516
.LBB14_404:
	s_mov_b64 s[26:27], 0
                                        ; implicit-def: $vgpr8
	s_branch .LBB14_516
.LBB14_405:
	s_mov_b64 s[20:21], -1
                                        ; implicit-def: $vgpr2
.LBB14_406:
	s_mov_b64 s[22:23], 0
.LBB14_407:
	s_and_b64 vcc, exec, s[22:23]
	s_cbranch_vccz .LBB14_411
; %bb.408:
	s_cmp_eq_u32 s28, 29
	s_cbranch_scc0 .LBB14_410
; %bb.409:
	global_load_dwordx2 v[2:3], v[0:1], off
	s_mov_b64 s[0:1], -1
	s_mov_b64 s[20:21], 0
	s_mov_b64 s[22:23], 0
	s_waitcnt vmcnt(0)
	v_ffbh_u32_e32 v4, v3
	v_min_u32_e32 v4, 32, v4
	v_lshlrev_b64 v[2:3], v4, v[2:3]
	v_min_u32_e32 v2, 1, v2
	v_or_b32_e32 v2, v3, v2
	v_cvt_f32_u32_e32 v2, v2
	v_sub_u32_e32 v3, 32, v4
	v_ldexp_f32 v2, v2, v3
	s_branch .LBB14_412
.LBB14_410:
	s_mov_b64 s[20:21], -1
                                        ; implicit-def: $vgpr2
.LBB14_411:
	s_mov_b64 s[22:23], 0
.LBB14_412:
	s_and_b64 vcc, exec, s[22:23]
	s_cbranch_vccz .LBB14_430
; %bb.413:
	s_cmp_lt_i32 s28, 27
	s_cbranch_scc1 .LBB14_416
; %bb.414:
	s_cmp_gt_i32 s28, 27
	s_cbranch_scc0 .LBB14_417
; %bb.415:
	global_load_dword v2, v[0:1], off
	s_mov_b64 s[0:1], 0
	s_waitcnt vmcnt(0)
	v_cvt_f32_u32_e32 v2, v2
	s_branch .LBB14_418
.LBB14_416:
	s_mov_b64 s[0:1], -1
                                        ; implicit-def: $vgpr2
	s_branch .LBB14_421
.LBB14_417:
	s_mov_b64 s[0:1], -1
                                        ; implicit-def: $vgpr2
.LBB14_418:
	s_andn2_b64 vcc, exec, s[0:1]
	s_cbranch_vccnz .LBB14_420
; %bb.419:
	global_load_ushort v2, v[0:1], off
	s_waitcnt vmcnt(0)
	v_cvt_f32_u32_e32 v2, v2
.LBB14_420:
	s_mov_b64 s[0:1], 0
.LBB14_421:
	s_andn2_b64 vcc, exec, s[0:1]
	s_cbranch_vccnz .LBB14_429
; %bb.422:
	global_load_ubyte v3, v[0:1], off
	s_movk_i32 s0, 0x7f
	s_waitcnt vmcnt(0)
	v_cmp_lt_i16_e32 vcc, s0, v3
	s_mov_b64 s[0:1], 0
	s_and_saveexec_b64 s[22:23], vcc
	s_xor_b64 s[22:23], exec, s[22:23]
	s_cbranch_execz .LBB14_443
; %bb.423:
	s_movk_i32 s0, 0x80
	v_cmp_eq_u16_e32 vcc, s0, v3
	s_mov_b64 s[0:1], -1
	s_and_saveexec_b64 s[26:27], vcc
; %bb.424:
	s_xor_b64 s[0:1], exec, -1
; %bb.425:
	s_or_b64 exec, exec, s[26:27]
	s_and_b64 s[0:1], s[0:1], exec
	s_or_saveexec_b64 s[22:23], s[22:23]
	v_mov_b32_e32 v2, 0x7f800001
	s_xor_b64 exec, exec, s[22:23]
	s_cbranch_execnz .LBB14_444
.LBB14_426:
	s_or_b64 exec, exec, s[22:23]
	s_and_saveexec_b64 s[22:23], s[0:1]
	s_cbranch_execz .LBB14_428
.LBB14_427:
	v_lshlrev_b32_e32 v2, 24, v3
	v_and_b32_e32 v3, 0xffff, v3
	v_and_b32_e32 v4, 7, v3
	v_ffbh_u32_e32 v6, v4
	v_min_u32_e32 v6, 32, v6
	v_subrev_u32_e32 v7, 28, v6
	v_bfe_u32 v5, v3, 3, 4
	v_lshlrev_b32_e32 v3, v7, v3
	v_sub_u32_e32 v6, 29, v6
	v_and_b32_e32 v3, 7, v3
	v_cmp_eq_u32_e32 vcc, 0, v5
	v_cndmask_b32_e32 v5, v5, v6, vcc
	v_cndmask_b32_e32 v3, v4, v3, vcc
	v_mov_b32_e32 v4, 0x3b800000
	v_lshlrev_b32_e32 v3, 20, v3
	v_and_b32_e32 v2, 0x80000000, v2
	v_lshl_add_u32 v4, v5, 23, v4
	v_or3_b32 v2, v2, v4, v3
.LBB14_428:
	s_or_b64 exec, exec, s[22:23]
.LBB14_429:
	s_mov_b64 s[0:1], -1
.LBB14_430:
	s_mov_b64 s[22:23], 0
.LBB14_431:
	s_and_b64 vcc, exec, s[22:23]
	s_cbranch_vccz .LBB14_466
; %bb.432:
	s_cmp_gt_i32 s28, 22
	s_cbranch_scc0 .LBB14_442
; %bb.433:
	s_cmp_lt_i32 s28, 24
	s_cbranch_scc1 .LBB14_445
; %bb.434:
	s_cmp_gt_i32 s28, 24
	s_cbranch_scc0 .LBB14_446
; %bb.435:
	global_load_ubyte v3, v[0:1], off
	s_movk_i32 s0, 0x7f
	s_waitcnt vmcnt(0)
	v_cmp_lt_i16_e32 vcc, s0, v3
	s_mov_b64 s[0:1], 0
	s_and_saveexec_b64 s[22:23], vcc
	s_xor_b64 s[22:23], exec, s[22:23]
	s_cbranch_execz .LBB14_458
; %bb.436:
	s_movk_i32 s0, 0x80
	v_cmp_eq_u16_e32 vcc, s0, v3
	s_mov_b64 s[0:1], -1
	s_and_saveexec_b64 s[26:27], vcc
; %bb.437:
	s_xor_b64 s[0:1], exec, -1
; %bb.438:
	s_or_b64 exec, exec, s[26:27]
	s_and_b64 s[0:1], s[0:1], exec
	s_or_saveexec_b64 s[22:23], s[22:23]
	v_mov_b32_e32 v2, 0x7f800001
	s_xor_b64 exec, exec, s[22:23]
	s_cbranch_execnz .LBB14_459
.LBB14_439:
	s_or_b64 exec, exec, s[22:23]
	s_and_saveexec_b64 s[22:23], s[0:1]
	s_cbranch_execz .LBB14_441
.LBB14_440:
	v_lshlrev_b32_e32 v2, 24, v3
	v_and_b32_e32 v3, 0xffff, v3
	v_and_b32_e32 v4, 3, v3
	v_ffbh_u32_e32 v6, v4
	v_min_u32_e32 v6, 32, v6
	v_subrev_u32_e32 v7, 29, v6
	v_bfe_u32 v5, v3, 2, 5
	v_lshlrev_b32_e32 v3, v7, v3
	v_sub_u32_e32 v6, 30, v6
	v_and_b32_e32 v3, 3, v3
	v_cmp_eq_u32_e32 vcc, 0, v5
	v_cndmask_b32_e32 v5, v5, v6, vcc
	v_cndmask_b32_e32 v3, v4, v3, vcc
	v_mov_b32_e32 v4, 0x37800000
	v_lshlrev_b32_e32 v3, 21, v3
	v_and_b32_e32 v2, 0x80000000, v2
	v_lshl_add_u32 v4, v5, 23, v4
	v_or3_b32 v2, v2, v4, v3
.LBB14_441:
	s_or_b64 exec, exec, s[22:23]
	s_mov_b64 s[0:1], 0
	s_branch .LBB14_447
.LBB14_442:
	s_mov_b64 s[22:23], -1
                                        ; implicit-def: $vgpr2
	s_branch .LBB14_453
.LBB14_443:
	s_or_saveexec_b64 s[22:23], s[22:23]
	v_mov_b32_e32 v2, 0x7f800001
	s_xor_b64 exec, exec, s[22:23]
	s_cbranch_execz .LBB14_426
.LBB14_444:
	v_cmp_ne_u16_e32 vcc, 0, v3
	s_andn2_b64 s[0:1], s[0:1], exec
	s_and_b64 s[26:27], vcc, exec
	v_mov_b32_e32 v2, 0
	s_or_b64 s[0:1], s[0:1], s[26:27]
	s_or_b64 exec, exec, s[22:23]
	s_and_saveexec_b64 s[22:23], s[0:1]
	s_cbranch_execnz .LBB14_427
	s_branch .LBB14_428
.LBB14_445:
	s_mov_b64 s[0:1], -1
                                        ; implicit-def: $vgpr2
	s_branch .LBB14_450
.LBB14_446:
	s_mov_b64 s[0:1], -1
                                        ; implicit-def: $vgpr2
.LBB14_447:
	s_and_b64 vcc, exec, s[0:1]
	s_cbranch_vccz .LBB14_449
; %bb.448:
	global_load_ubyte v2, v[0:1], off
	s_mov_b32 s0, 0x7f800000
	s_waitcnt vmcnt(0)
	v_lshlrev_b32_e32 v2, 24, v2
	v_and_b32_e32 v3, 0x7f000000, v2
	v_ffbh_u32_e32 v4, v3
	v_min_u32_e32 v4, 32, v4
	v_sub_u32_e64 v4, v4, 4 clamp
	v_lshlrev_b32_e32 v6, v4, v3
	v_lshlrev_b32_e32 v4, 23, v4
	v_lshrrev_b32_e32 v6, 4, v6
	v_add_u32_e32 v5, 0x1000000, v3
	v_sub_u32_e32 v4, v6, v4
	v_ashrrev_i32_e32 v5, 8, v5
	v_add_u32_e32 v4, 0x3c000000, v4
	v_and_or_b32 v4, v5, s0, v4
	v_cmp_ne_u32_e32 vcc, 0, v3
	v_cndmask_b32_e32 v3, 0, v4, vcc
	s_brev_b32 s0, 1
	v_and_or_b32 v2, v2, s0, v3
.LBB14_449:
	s_mov_b64 s[0:1], 0
.LBB14_450:
	s_andn2_b64 vcc, exec, s[0:1]
	s_cbranch_vccnz .LBB14_452
; %bb.451:
	global_load_ubyte v2, v[0:1], off
	s_movk_i32 s0, 0x7f00
	s_brev_b32 s1, 16
	s_waitcnt vmcnt(0)
	v_lshlrev_b16_e32 v3, 8, v2
	v_lshlrev_b32_e32 v2, 25, v2
	v_lshrrev_b32_e32 v4, 4, v2
	v_and_or_b32 v5, v3, s0, 0.5
	v_or_b32_e32 v4, 0x70000000, v4
	v_add_f32_e32 v5, -0.5, v5
	v_mul_f32_e32 v4, 0x7800000, v4
	v_cmp_gt_u32_e32 vcc, s1, v2
	v_bfe_i32 v3, v3, 0, 16
	v_cndmask_b32_e32 v2, v4, v5, vcc
	s_brev_b32 s0, 1
	v_and_or_b32 v2, v3, s0, v2
.LBB14_452:
	s_mov_b64 s[22:23], 0
	s_mov_b64 s[0:1], -1
.LBB14_453:
	s_andn2_b64 vcc, exec, s[22:23]
	s_cbranch_vccnz .LBB14_466
; %bb.454:
	s_cmp_gt_i32 s28, 14
	s_cbranch_scc0 .LBB14_457
; %bb.455:
	s_cmp_eq_u32 s28, 15
	s_cbranch_scc0 .LBB14_460
; %bb.456:
	global_load_ushort v2, v[0:1], off
	s_mov_b64 s[0:1], -1
	s_mov_b64 s[20:21], 0
	s_waitcnt vmcnt(0)
	v_lshlrev_b32_e32 v2, 16, v2
	s_branch .LBB14_461
.LBB14_457:
	s_mov_b64 s[22:23], -1
                                        ; implicit-def: $vgpr2
	s_branch .LBB14_462
.LBB14_458:
	s_or_saveexec_b64 s[22:23], s[22:23]
	v_mov_b32_e32 v2, 0x7f800001
	s_xor_b64 exec, exec, s[22:23]
	s_cbranch_execz .LBB14_439
.LBB14_459:
	v_cmp_ne_u16_e32 vcc, 0, v3
	s_andn2_b64 s[0:1], s[0:1], exec
	s_and_b64 s[26:27], vcc, exec
	v_mov_b32_e32 v2, 0
	s_or_b64 s[0:1], s[0:1], s[26:27]
	s_or_b64 exec, exec, s[22:23]
	s_and_saveexec_b64 s[22:23], s[0:1]
	s_cbranch_execnz .LBB14_440
	s_branch .LBB14_441
.LBB14_460:
	s_mov_b64 s[20:21], -1
                                        ; implicit-def: $vgpr2
.LBB14_461:
	s_mov_b64 s[22:23], 0
.LBB14_462:
	s_and_b64 vcc, exec, s[22:23]
	s_cbranch_vccz .LBB14_466
; %bb.463:
	s_cmp_eq_u32 s28, 11
	s_cbranch_scc0 .LBB14_465
; %bb.464:
	global_load_ubyte v2, v[0:1], off
	s_mov_b64 s[0:1], -1
	s_mov_b64 s[20:21], 0
	s_waitcnt vmcnt(0)
	v_cmp_ne_u16_e32 vcc, 0, v2
	v_cndmask_b32_e64 v2, 0, 1.0, vcc
	s_branch .LBB14_466
.LBB14_465:
	s_mov_b64 s[20:21], -1
                                        ; implicit-def: $vgpr2
.LBB14_466:
	s_branch .LBB14_267
.LBB14_467:
	s_cmp_lt_i32 s28, 5
	s_cbranch_scc1 .LBB14_472
; %bb.468:
	s_cmp_lt_i32 s28, 8
	s_cbranch_scc1 .LBB14_473
; %bb.469:
	;; [unrolled: 3-line block ×3, first 2 shown]
	s_cmp_gt_i32 s28, 9
	s_cbranch_scc0 .LBB14_475
; %bb.471:
	global_load_dwordx2 v[2:3], v[0:1], off
	s_mov_b64 s[0:1], 0
	s_waitcnt vmcnt(0)
	v_cvt_f32_f64_e32 v2, v[2:3]
	s_branch .LBB14_476
.LBB14_472:
	s_mov_b64 s[0:1], -1
                                        ; implicit-def: $vgpr2
	s_branch .LBB14_494
.LBB14_473:
	s_mov_b64 s[0:1], -1
                                        ; implicit-def: $vgpr2
	s_branch .LBB14_482
.LBB14_474:
	s_mov_b64 s[0:1], -1
                                        ; implicit-def: $vgpr2
	s_branch .LBB14_479
.LBB14_475:
	s_mov_b64 s[0:1], -1
                                        ; implicit-def: $vgpr2
.LBB14_476:
	s_andn2_b64 vcc, exec, s[0:1]
	s_cbranch_vccnz .LBB14_478
; %bb.477:
	global_load_dword v2, v[0:1], off
.LBB14_478:
	s_mov_b64 s[0:1], 0
.LBB14_479:
	s_andn2_b64 vcc, exec, s[0:1]
	s_cbranch_vccnz .LBB14_481
; %bb.480:
	global_load_dword v2, v[0:1], off
	s_waitcnt vmcnt(0)
	v_cvt_f32_f16_e32 v2, v2
.LBB14_481:
	s_mov_b64 s[0:1], 0
.LBB14_482:
	s_andn2_b64 vcc, exec, s[0:1]
	s_cbranch_vccnz .LBB14_493
; %bb.483:
	s_cmp_lt_i32 s28, 6
	s_cbranch_scc1 .LBB14_486
; %bb.484:
	s_cmp_gt_i32 s28, 6
	s_cbranch_scc0 .LBB14_487
; %bb.485:
	global_load_dwordx2 v[2:3], v[0:1], off
	s_mov_b64 s[0:1], 0
	s_waitcnt vmcnt(0)
	v_cvt_f32_f64_e32 v2, v[2:3]
	s_branch .LBB14_488
.LBB14_486:
	s_mov_b64 s[0:1], -1
                                        ; implicit-def: $vgpr2
	s_branch .LBB14_491
.LBB14_487:
	s_mov_b64 s[0:1], -1
                                        ; implicit-def: $vgpr2
.LBB14_488:
	s_andn2_b64 vcc, exec, s[0:1]
	s_cbranch_vccnz .LBB14_490
; %bb.489:
	global_load_dword v2, v[0:1], off
.LBB14_490:
	s_mov_b64 s[0:1], 0
.LBB14_491:
	s_andn2_b64 vcc, exec, s[0:1]
	s_cbranch_vccnz .LBB14_493
; %bb.492:
	global_load_ushort v2, v[0:1], off
	s_waitcnt vmcnt(0)
	v_cvt_f32_f16_e32 v2, v2
.LBB14_493:
	s_mov_b64 s[0:1], 0
.LBB14_494:
	s_andn2_b64 vcc, exec, s[0:1]
	s_cbranch_vccnz .LBB14_514
; %bb.495:
	s_cmp_lt_i32 s28, 2
	s_cbranch_scc1 .LBB14_499
; %bb.496:
	s_cmp_lt_i32 s28, 3
	s_cbranch_scc1 .LBB14_500
; %bb.497:
	s_cmp_gt_i32 s28, 3
	s_cbranch_scc0 .LBB14_501
; %bb.498:
	global_load_dwordx2 v[2:3], v[0:1], off
	s_mov_b64 s[0:1], 0
	s_waitcnt vmcnt(0)
	v_xor_b32_e32 v5, v2, v3
	v_ffbh_i32_e32 v4, v3
	v_ashrrev_i32_e32 v5, 31, v5
	v_add_u32_e32 v4, -1, v4
	v_add_u32_e32 v5, 32, v5
	v_min_u32_e32 v4, v4, v5
	v_lshlrev_b64 v[2:3], v4, v[2:3]
	v_min_u32_e32 v2, 1, v2
	v_or_b32_e32 v2, v3, v2
	v_cvt_f32_i32_e32 v2, v2
	v_sub_u32_e32 v3, 32, v4
	v_ldexp_f32 v2, v2, v3
	s_branch .LBB14_502
.LBB14_499:
	s_mov_b64 s[0:1], -1
                                        ; implicit-def: $vgpr2
	s_branch .LBB14_508
.LBB14_500:
	s_mov_b64 s[0:1], -1
                                        ; implicit-def: $vgpr2
	s_branch .LBB14_505
.LBB14_501:
	s_mov_b64 s[0:1], -1
                                        ; implicit-def: $vgpr2
.LBB14_502:
	s_andn2_b64 vcc, exec, s[0:1]
	s_cbranch_vccnz .LBB14_504
; %bb.503:
	global_load_dword v2, v[0:1], off
	s_waitcnt vmcnt(0)
	v_cvt_f32_i32_e32 v2, v2
.LBB14_504:
	s_mov_b64 s[0:1], 0
.LBB14_505:
	s_andn2_b64 vcc, exec, s[0:1]
	s_cbranch_vccnz .LBB14_507
; %bb.506:
	global_load_sshort v2, v[0:1], off
	s_waitcnt vmcnt(0)
	v_cvt_f32_i32_e32 v2, v2
.LBB14_507:
	s_mov_b64 s[0:1], 0
.LBB14_508:
	s_andn2_b64 vcc, exec, s[0:1]
	s_cbranch_vccnz .LBB14_514
; %bb.509:
	s_cmp_gt_i32 s28, 0
	s_cbranch_scc0 .LBB14_511
; %bb.510:
	global_load_sbyte v2, v[0:1], off
	s_mov_b64 s[0:1], 0
	s_waitcnt vmcnt(0)
	v_cvt_f32_i32_e32 v2, v2
	s_branch .LBB14_512
.LBB14_511:
	s_mov_b64 s[0:1], -1
                                        ; implicit-def: $vgpr2
.LBB14_512:
	s_andn2_b64 vcc, exec, s[0:1]
	s_cbranch_vccnz .LBB14_514
; %bb.513:
	global_load_ubyte v0, v[0:1], off
	s_waitcnt vmcnt(0)
	v_cvt_f32_ubyte0_e32 v2, v0
.LBB14_514:
	s_branch .LBB14_268
.LBB14_515:
	s_mov_b64 s[26:27], 0
                                        ; implicit-def: $vgpr8
	s_mov_b64 s[0:1], s[6:7]
.LBB14_516:
	s_andn2_b64 s[22:23], s[6:7], exec
	s_and_b64 s[0:1], s[0:1], exec
	s_or_b64 s[22:23], s[22:23], s[0:1]
	s_andn2_b64 s[0:1], s[16:17], exec
	s_and_b64 s[20:21], s[20:21], exec
	s_or_b64 s[20:21], s[0:1], s[20:21]
	s_orn2_b64 s[0:1], s[26:27], exec
.LBB14_517:
	s_or_b64 exec, exec, s[24:25]
	s_mov_b64 s[26:27], 0
	s_mov_b64 s[28:29], 0
	;; [unrolled: 1-line block ×3, first 2 shown]
                                        ; implicit-def: $vgpr0_vgpr1
                                        ; implicit-def: $vgpr4
	s_and_saveexec_b64 s[24:25], s[0:1]
	s_cbranch_execz .LBB14_864
; %bb.518:
	v_cmp_gt_i32_e32 vcc, s40, v8
	s_mov_b64 s[36:37], -1
	s_mov_b64 s[0:1], s[20:21]
	s_mov_b64 s[30:31], s[22:23]
	s_and_saveexec_b64 s[26:27], vcc
	s_cbranch_execz .LBB14_778
; %bb.519:
	v_mul_lo_u32 v0, v8, s13
	v_mov_b32_e32 v1, s11
	s_and_b32 s36, 0xffff, s15
	s_cmp_lt_i32 s36, 11
	s_waitcnt vmcnt(0)
	v_ashrrev_i32_e32 v2, 31, v0
	v_add_co_u32_e32 v0, vcc, s10, v0
	v_addc_co_u32_e32 v1, vcc, v1, v2, vcc
	s_cbranch_scc1 .LBB14_526
; %bb.520:
	s_cmp_gt_i32 s36, 25
	s_cbranch_scc0 .LBB14_527
; %bb.521:
	s_cmp_gt_i32 s36, 28
	s_cbranch_scc0 .LBB14_528
	;; [unrolled: 3-line block ×4, first 2 shown]
; %bb.524:
	s_cmp_eq_u32 s36, 46
	s_mov_b64 s[30:31], 0
	s_cbranch_scc0 .LBB14_535
; %bb.525:
	global_load_dword v2, v[0:1], off
	s_mov_b64 s[0:1], -1
	s_waitcnt vmcnt(0)
	v_lshlrev_b32_e32 v2, 16, v2
	s_branch .LBB14_536
.LBB14_526:
	s_mov_b64 s[30:31], -1
	s_mov_b64 s[0:1], 0
                                        ; implicit-def: $vgpr2
	s_mov_b64 s[28:29], s[20:21]
	s_branch .LBB14_601
.LBB14_527:
	s_mov_b64 s[30:31], -1
	s_mov_b64 s[0:1], 0
	s_mov_b64 s[28:29], s[20:21]
                                        ; implicit-def: $vgpr2
	s_branch .LBB14_565
.LBB14_528:
	s_mov_b64 s[30:31], -1
	s_mov_b64 s[0:1], 0
	s_mov_b64 s[28:29], s[20:21]
                                        ; implicit-def: $vgpr2
	s_branch .LBB14_546
.LBB14_529:
	s_mov_b64 s[30:31], -1
	s_mov_b64 s[0:1], 0
	s_mov_b64 s[28:29], s[20:21]
                                        ; implicit-def: $vgpr2
	s_branch .LBB14_541
.LBB14_530:
	s_andn2_saveexec_b64 s[28:29], s[28:29]
	s_cbranch_execz .LBB14_315
.LBB14_531:
	s_mov_b32 s34, 0x46000000
	v_add_f32_e64 v1, |v0|, s34
	v_and_b32_e32 v1, 0xff, v1
	v_cmp_ne_u32_e32 vcc, 0, v1
	s_andn2_b64 s[26:27], s[26:27], exec
	s_and_b64 s[34:35], vcc, exec
	s_or_b64 s[26:27], s[26:27], s[34:35]
	s_or_b64 exec, exec, s[28:29]
	v_mov_b32_e32 v4, 0
	s_and_saveexec_b64 s[28:29], s[26:27]
	s_cbranch_execnz .LBB14_316
	s_branch .LBB14_317
.LBB14_532:
	s_mov_b64 s[30:31], -1
	s_mov_b64 s[0:1], 0
	s_mov_b64 s[28:29], s[20:21]
                                        ; implicit-def: $vgpr2
	s_branch .LBB14_536
.LBB14_533:
	s_andn2_saveexec_b64 s[28:29], s[28:29]
	s_cbranch_execz .LBB14_328
.LBB14_534:
	s_mov_b32 s34, 0x42800000
	v_add_f32_e64 v1, |v0|, s34
	v_and_b32_e32 v1, 0xff, v1
	v_cmp_ne_u32_e32 vcc, 0, v1
	s_andn2_b64 s[26:27], s[26:27], exec
	s_and_b64 s[34:35], vcc, exec
	s_or_b64 s[26:27], s[26:27], s[34:35]
	s_or_b64 exec, exec, s[28:29]
	v_mov_b32_e32 v4, 0
	s_and_saveexec_b64 s[28:29], s[26:27]
	s_cbranch_execnz .LBB14_329
	s_branch .LBB14_330
.LBB14_535:
	s_mov_b64 s[28:29], -1
                                        ; implicit-def: $vgpr2
	s_mov_b64 s[0:1], 0
.LBB14_536:
	s_and_b64 vcc, exec, s[30:31]
	s_cbranch_vccz .LBB14_540
; %bb.537:
	s_cmp_eq_u32 s36, 44
	s_cbranch_scc0 .LBB14_539
; %bb.538:
	global_load_ubyte v2, v[0:1], off
	s_movk_i32 s28, 0xff
	v_mov_b32_e32 v3, 0x7f800001
	v_mov_b32_e32 v4, 0x400000
	s_mov_b64 s[0:1], -1
	s_waitcnt vmcnt(0)
	v_lshlrev_b32_e32 v5, 23, v2
	v_cmp_ne_u32_e32 vcc, s28, v2
	v_cndmask_b32_e32 v3, v3, v5, vcc
	v_cmp_ne_u32_e32 vcc, 0, v2
	v_cndmask_b32_e32 v2, v4, v3, vcc
	s_mov_b64 s[28:29], 0
	s_branch .LBB14_540
.LBB14_539:
	s_mov_b64 s[28:29], -1
                                        ; implicit-def: $vgpr2
.LBB14_540:
	s_mov_b64 s[30:31], 0
.LBB14_541:
	s_and_b64 vcc, exec, s[30:31]
	s_cbranch_vccz .LBB14_545
; %bb.542:
	s_cmp_eq_u32 s36, 29
	s_cbranch_scc0 .LBB14_544
; %bb.543:
	global_load_dwordx2 v[2:3], v[0:1], off
	s_mov_b64 s[0:1], -1
	s_mov_b64 s[28:29], 0
	s_mov_b64 s[30:31], 0
	s_waitcnt vmcnt(0)
	v_ffbh_u32_e32 v4, v3
	v_min_u32_e32 v4, 32, v4
	v_lshlrev_b64 v[2:3], v4, v[2:3]
	v_min_u32_e32 v2, 1, v2
	v_or_b32_e32 v2, v3, v2
	v_cvt_f32_u32_e32 v2, v2
	v_sub_u32_e32 v3, 32, v4
	v_ldexp_f32 v2, v2, v3
	s_branch .LBB14_546
.LBB14_544:
	s_mov_b64 s[28:29], -1
                                        ; implicit-def: $vgpr2
.LBB14_545:
	s_mov_b64 s[30:31], 0
.LBB14_546:
	s_and_b64 vcc, exec, s[30:31]
	s_cbranch_vccz .LBB14_564
; %bb.547:
	s_cmp_lt_i32 s36, 27
	s_cbranch_scc1 .LBB14_550
; %bb.548:
	s_cmp_gt_i32 s36, 27
	s_cbranch_scc0 .LBB14_551
; %bb.549:
	global_load_dword v2, v[0:1], off
	s_mov_b64 s[0:1], 0
	s_waitcnt vmcnt(0)
	v_cvt_f32_u32_e32 v2, v2
	s_branch .LBB14_552
.LBB14_550:
	s_mov_b64 s[0:1], -1
                                        ; implicit-def: $vgpr2
	s_branch .LBB14_555
.LBB14_551:
	s_mov_b64 s[0:1], -1
                                        ; implicit-def: $vgpr2
.LBB14_552:
	s_andn2_b64 vcc, exec, s[0:1]
	s_cbranch_vccnz .LBB14_554
; %bb.553:
	global_load_ushort v2, v[0:1], off
	s_waitcnt vmcnt(0)
	v_cvt_f32_u32_e32 v2, v2
.LBB14_554:
	s_mov_b64 s[0:1], 0
.LBB14_555:
	s_andn2_b64 vcc, exec, s[0:1]
	s_cbranch_vccnz .LBB14_563
; %bb.556:
	global_load_ubyte v3, v[0:1], off
	s_movk_i32 s0, 0x7f
	s_waitcnt vmcnt(0)
	v_cmp_lt_i16_e32 vcc, s0, v3
	s_mov_b64 s[0:1], 0
	s_and_saveexec_b64 s[30:31], vcc
	s_xor_b64 s[30:31], exec, s[30:31]
	s_cbranch_execz .LBB14_577
; %bb.557:
	s_movk_i32 s0, 0x80
	v_cmp_eq_u16_e32 vcc, s0, v3
	s_mov_b64 s[0:1], -1
	s_and_saveexec_b64 s[34:35], vcc
; %bb.558:
	s_xor_b64 s[0:1], exec, -1
; %bb.559:
	s_or_b64 exec, exec, s[34:35]
	s_and_b64 s[0:1], s[0:1], exec
	s_or_saveexec_b64 s[30:31], s[30:31]
	v_mov_b32_e32 v2, 0x7f800001
	s_xor_b64 exec, exec, s[30:31]
	s_cbranch_execnz .LBB14_578
.LBB14_560:
	s_or_b64 exec, exec, s[30:31]
	s_and_saveexec_b64 s[30:31], s[0:1]
	s_cbranch_execz .LBB14_562
.LBB14_561:
	v_lshlrev_b32_e32 v2, 24, v3
	v_and_b32_e32 v3, 0xffff, v3
	v_and_b32_e32 v4, 7, v3
	v_ffbh_u32_e32 v6, v4
	v_min_u32_e32 v6, 32, v6
	v_subrev_u32_e32 v7, 28, v6
	v_bfe_u32 v5, v3, 3, 4
	v_lshlrev_b32_e32 v3, v7, v3
	v_sub_u32_e32 v6, 29, v6
	v_and_b32_e32 v3, 7, v3
	v_cmp_eq_u32_e32 vcc, 0, v5
	v_cndmask_b32_e32 v5, v5, v6, vcc
	v_cndmask_b32_e32 v3, v4, v3, vcc
	v_mov_b32_e32 v4, 0x3b800000
	v_lshlrev_b32_e32 v3, 20, v3
	v_and_b32_e32 v2, 0x80000000, v2
	v_lshl_add_u32 v4, v5, 23, v4
	v_or3_b32 v2, v2, v4, v3
.LBB14_562:
	s_or_b64 exec, exec, s[30:31]
.LBB14_563:
	s_mov_b64 s[0:1], -1
.LBB14_564:
	s_mov_b64 s[30:31], 0
.LBB14_565:
	s_and_b64 vcc, exec, s[30:31]
	s_cbranch_vccz .LBB14_600
; %bb.566:
	s_cmp_gt_i32 s36, 22
	s_cbranch_scc0 .LBB14_576
; %bb.567:
	s_cmp_lt_i32 s36, 24
	s_cbranch_scc1 .LBB14_579
; %bb.568:
	s_cmp_gt_i32 s36, 24
	s_cbranch_scc0 .LBB14_580
; %bb.569:
	global_load_ubyte v3, v[0:1], off
	s_movk_i32 s0, 0x7f
	s_waitcnt vmcnt(0)
	v_cmp_lt_i16_e32 vcc, s0, v3
	s_mov_b64 s[0:1], 0
	s_and_saveexec_b64 s[30:31], vcc
	s_xor_b64 s[30:31], exec, s[30:31]
	s_cbranch_execz .LBB14_592
; %bb.570:
	s_movk_i32 s0, 0x80
	v_cmp_eq_u16_e32 vcc, s0, v3
	s_mov_b64 s[0:1], -1
	s_and_saveexec_b64 s[34:35], vcc
; %bb.571:
	s_xor_b64 s[0:1], exec, -1
; %bb.572:
	s_or_b64 exec, exec, s[34:35]
	s_and_b64 s[0:1], s[0:1], exec
	s_or_saveexec_b64 s[30:31], s[30:31]
	v_mov_b32_e32 v2, 0x7f800001
	s_xor_b64 exec, exec, s[30:31]
	s_cbranch_execnz .LBB14_593
.LBB14_573:
	s_or_b64 exec, exec, s[30:31]
	s_and_saveexec_b64 s[30:31], s[0:1]
	s_cbranch_execz .LBB14_575
.LBB14_574:
	v_lshlrev_b32_e32 v2, 24, v3
	v_and_b32_e32 v3, 0xffff, v3
	v_and_b32_e32 v4, 3, v3
	v_ffbh_u32_e32 v6, v4
	v_min_u32_e32 v6, 32, v6
	v_subrev_u32_e32 v7, 29, v6
	v_bfe_u32 v5, v3, 2, 5
	v_lshlrev_b32_e32 v3, v7, v3
	v_sub_u32_e32 v6, 30, v6
	v_and_b32_e32 v3, 3, v3
	v_cmp_eq_u32_e32 vcc, 0, v5
	v_cndmask_b32_e32 v5, v5, v6, vcc
	v_cndmask_b32_e32 v3, v4, v3, vcc
	v_mov_b32_e32 v4, 0x37800000
	v_lshlrev_b32_e32 v3, 21, v3
	v_and_b32_e32 v2, 0x80000000, v2
	v_lshl_add_u32 v4, v5, 23, v4
	v_or3_b32 v2, v2, v4, v3
.LBB14_575:
	s_or_b64 exec, exec, s[30:31]
	s_mov_b64 s[0:1], 0
	s_branch .LBB14_581
.LBB14_576:
	s_mov_b64 s[30:31], -1
                                        ; implicit-def: $vgpr2
	s_branch .LBB14_587
.LBB14_577:
	s_or_saveexec_b64 s[30:31], s[30:31]
	v_mov_b32_e32 v2, 0x7f800001
	s_xor_b64 exec, exec, s[30:31]
	s_cbranch_execz .LBB14_560
.LBB14_578:
	v_cmp_ne_u16_e32 vcc, 0, v3
	s_andn2_b64 s[0:1], s[0:1], exec
	s_and_b64 s[34:35], vcc, exec
	v_mov_b32_e32 v2, 0
	s_or_b64 s[0:1], s[0:1], s[34:35]
	s_or_b64 exec, exec, s[30:31]
	s_and_saveexec_b64 s[30:31], s[0:1]
	s_cbranch_execnz .LBB14_561
	s_branch .LBB14_562
.LBB14_579:
	s_mov_b64 s[0:1], -1
                                        ; implicit-def: $vgpr2
	s_branch .LBB14_584
.LBB14_580:
	s_mov_b64 s[0:1], -1
                                        ; implicit-def: $vgpr2
.LBB14_581:
	s_and_b64 vcc, exec, s[0:1]
	s_cbranch_vccz .LBB14_583
; %bb.582:
	global_load_ubyte v2, v[0:1], off
	s_mov_b32 s0, 0x7f800000
	s_waitcnt vmcnt(0)
	v_lshlrev_b32_e32 v2, 24, v2
	v_and_b32_e32 v3, 0x7f000000, v2
	v_ffbh_u32_e32 v4, v3
	v_min_u32_e32 v4, 32, v4
	v_sub_u32_e64 v4, v4, 4 clamp
	v_lshlrev_b32_e32 v6, v4, v3
	v_lshlrev_b32_e32 v4, 23, v4
	v_lshrrev_b32_e32 v6, 4, v6
	v_add_u32_e32 v5, 0x1000000, v3
	v_sub_u32_e32 v4, v6, v4
	v_ashrrev_i32_e32 v5, 8, v5
	v_add_u32_e32 v4, 0x3c000000, v4
	v_and_or_b32 v4, v5, s0, v4
	v_cmp_ne_u32_e32 vcc, 0, v3
	v_cndmask_b32_e32 v3, 0, v4, vcc
	s_brev_b32 s0, 1
	v_and_or_b32 v2, v2, s0, v3
.LBB14_583:
	s_mov_b64 s[0:1], 0
.LBB14_584:
	s_andn2_b64 vcc, exec, s[0:1]
	s_cbranch_vccnz .LBB14_586
; %bb.585:
	global_load_ubyte v2, v[0:1], off
	s_movk_i32 s0, 0x7f00
	s_brev_b32 s1, 16
	s_waitcnt vmcnt(0)
	v_lshlrev_b16_e32 v3, 8, v2
	v_lshlrev_b32_e32 v2, 25, v2
	v_lshrrev_b32_e32 v4, 4, v2
	v_and_or_b32 v5, v3, s0, 0.5
	v_or_b32_e32 v4, 0x70000000, v4
	v_add_f32_e32 v5, -0.5, v5
	v_mul_f32_e32 v4, 0x7800000, v4
	v_cmp_gt_u32_e32 vcc, s1, v2
	v_bfe_i32 v3, v3, 0, 16
	v_cndmask_b32_e32 v2, v4, v5, vcc
	s_brev_b32 s0, 1
	v_and_or_b32 v2, v3, s0, v2
.LBB14_586:
	s_mov_b64 s[30:31], 0
	s_mov_b64 s[0:1], -1
.LBB14_587:
	s_andn2_b64 vcc, exec, s[30:31]
	s_cbranch_vccnz .LBB14_600
; %bb.588:
	s_cmp_gt_i32 s36, 14
	s_cbranch_scc0 .LBB14_591
; %bb.589:
	s_cmp_eq_u32 s36, 15
	s_cbranch_scc0 .LBB14_594
; %bb.590:
	global_load_ushort v2, v[0:1], off
	s_mov_b64 s[0:1], -1
	s_mov_b64 s[28:29], 0
	s_waitcnt vmcnt(0)
	v_lshlrev_b32_e32 v2, 16, v2
	s_branch .LBB14_595
.LBB14_591:
	s_mov_b64 s[30:31], -1
                                        ; implicit-def: $vgpr2
	s_branch .LBB14_596
.LBB14_592:
	s_or_saveexec_b64 s[30:31], s[30:31]
	v_mov_b32_e32 v2, 0x7f800001
	s_xor_b64 exec, exec, s[30:31]
	s_cbranch_execz .LBB14_573
.LBB14_593:
	v_cmp_ne_u16_e32 vcc, 0, v3
	s_andn2_b64 s[0:1], s[0:1], exec
	s_and_b64 s[34:35], vcc, exec
	v_mov_b32_e32 v2, 0
	s_or_b64 s[0:1], s[0:1], s[34:35]
	s_or_b64 exec, exec, s[30:31]
	s_and_saveexec_b64 s[30:31], s[0:1]
	s_cbranch_execnz .LBB14_574
	s_branch .LBB14_575
.LBB14_594:
	s_mov_b64 s[28:29], -1
                                        ; implicit-def: $vgpr2
.LBB14_595:
	s_mov_b64 s[30:31], 0
.LBB14_596:
	s_and_b64 vcc, exec, s[30:31]
	s_cbranch_vccz .LBB14_600
; %bb.597:
	s_cmp_eq_u32 s36, 11
	s_cbranch_scc0 .LBB14_599
; %bb.598:
	global_load_ubyte v2, v[0:1], off
	s_mov_b64 s[0:1], -1
	s_mov_b64 s[28:29], 0
	s_waitcnt vmcnt(0)
	v_cmp_ne_u16_e32 vcc, 0, v2
	v_cndmask_b32_e64 v2, 0, 1.0, vcc
	s_branch .LBB14_600
.LBB14_599:
	s_mov_b64 s[28:29], -1
                                        ; implicit-def: $vgpr2
.LBB14_600:
	s_mov_b64 s[30:31], 0
.LBB14_601:
	s_and_b64 vcc, exec, s[30:31]
	s_cbranch_vccz .LBB14_650
; %bb.602:
	s_cmp_lt_i32 s36, 5
	s_cbranch_scc1 .LBB14_607
; %bb.603:
	s_cmp_lt_i32 s36, 8
	s_cbranch_scc1 .LBB14_608
	;; [unrolled: 3-line block ×3, first 2 shown]
; %bb.605:
	s_cmp_gt_i32 s36, 9
	s_cbranch_scc0 .LBB14_610
; %bb.606:
	global_load_dwordx2 v[2:3], v[0:1], off
	s_mov_b64 s[0:1], 0
	s_waitcnt vmcnt(0)
	v_cvt_f32_f64_e32 v2, v[2:3]
	s_branch .LBB14_611
.LBB14_607:
	s_mov_b64 s[0:1], -1
                                        ; implicit-def: $vgpr2
	s_branch .LBB14_629
.LBB14_608:
	s_mov_b64 s[0:1], -1
                                        ; implicit-def: $vgpr2
	s_branch .LBB14_617
.LBB14_609:
	s_mov_b64 s[0:1], -1
                                        ; implicit-def: $vgpr2
	s_branch .LBB14_614
.LBB14_610:
	s_mov_b64 s[0:1], -1
                                        ; implicit-def: $vgpr2
.LBB14_611:
	s_andn2_b64 vcc, exec, s[0:1]
	s_cbranch_vccnz .LBB14_613
; %bb.612:
	global_load_dword v2, v[0:1], off
.LBB14_613:
	s_mov_b64 s[0:1], 0
.LBB14_614:
	s_andn2_b64 vcc, exec, s[0:1]
	s_cbranch_vccnz .LBB14_616
; %bb.615:
	global_load_dword v2, v[0:1], off
	s_waitcnt vmcnt(0)
	v_cvt_f32_f16_e32 v2, v2
.LBB14_616:
	s_mov_b64 s[0:1], 0
.LBB14_617:
	s_andn2_b64 vcc, exec, s[0:1]
	s_cbranch_vccnz .LBB14_628
; %bb.618:
	s_cmp_lt_i32 s36, 6
	s_cbranch_scc1 .LBB14_621
; %bb.619:
	s_cmp_gt_i32 s36, 6
	s_cbranch_scc0 .LBB14_622
; %bb.620:
	global_load_dwordx2 v[2:3], v[0:1], off
	s_mov_b64 s[0:1], 0
	s_waitcnt vmcnt(0)
	v_cvt_f32_f64_e32 v2, v[2:3]
	s_branch .LBB14_623
.LBB14_621:
	s_mov_b64 s[0:1], -1
                                        ; implicit-def: $vgpr2
	s_branch .LBB14_626
.LBB14_622:
	s_mov_b64 s[0:1], -1
                                        ; implicit-def: $vgpr2
.LBB14_623:
	s_andn2_b64 vcc, exec, s[0:1]
	s_cbranch_vccnz .LBB14_625
; %bb.624:
	global_load_dword v2, v[0:1], off
.LBB14_625:
	s_mov_b64 s[0:1], 0
.LBB14_626:
	s_andn2_b64 vcc, exec, s[0:1]
	s_cbranch_vccnz .LBB14_628
; %bb.627:
	global_load_ushort v2, v[0:1], off
	s_waitcnt vmcnt(0)
	v_cvt_f32_f16_e32 v2, v2
.LBB14_628:
	s_mov_b64 s[0:1], 0
.LBB14_629:
	s_andn2_b64 vcc, exec, s[0:1]
	s_cbranch_vccnz .LBB14_649
; %bb.630:
	s_cmp_lt_i32 s36, 2
	s_cbranch_scc1 .LBB14_634
; %bb.631:
	s_cmp_lt_i32 s36, 3
	s_cbranch_scc1 .LBB14_635
; %bb.632:
	s_cmp_gt_i32 s36, 3
	s_cbranch_scc0 .LBB14_636
; %bb.633:
	global_load_dwordx2 v[2:3], v[0:1], off
	s_mov_b64 s[0:1], 0
	s_waitcnt vmcnt(0)
	v_xor_b32_e32 v5, v2, v3
	v_ffbh_i32_e32 v4, v3
	v_ashrrev_i32_e32 v5, 31, v5
	v_add_u32_e32 v4, -1, v4
	v_add_u32_e32 v5, 32, v5
	v_min_u32_e32 v4, v4, v5
	v_lshlrev_b64 v[2:3], v4, v[2:3]
	v_min_u32_e32 v2, 1, v2
	v_or_b32_e32 v2, v3, v2
	v_cvt_f32_i32_e32 v2, v2
	v_sub_u32_e32 v3, 32, v4
	v_ldexp_f32 v2, v2, v3
	s_branch .LBB14_637
.LBB14_634:
	s_mov_b64 s[0:1], -1
                                        ; implicit-def: $vgpr2
	s_branch .LBB14_643
.LBB14_635:
	s_mov_b64 s[0:1], -1
                                        ; implicit-def: $vgpr2
	s_branch .LBB14_640
.LBB14_636:
	s_mov_b64 s[0:1], -1
                                        ; implicit-def: $vgpr2
.LBB14_637:
	s_andn2_b64 vcc, exec, s[0:1]
	s_cbranch_vccnz .LBB14_639
; %bb.638:
	global_load_dword v2, v[0:1], off
	s_waitcnt vmcnt(0)
	v_cvt_f32_i32_e32 v2, v2
.LBB14_639:
	s_mov_b64 s[0:1], 0
.LBB14_640:
	s_andn2_b64 vcc, exec, s[0:1]
	s_cbranch_vccnz .LBB14_642
; %bb.641:
	global_load_sshort v2, v[0:1], off
	s_waitcnt vmcnt(0)
	v_cvt_f32_i32_e32 v2, v2
.LBB14_642:
	s_mov_b64 s[0:1], 0
.LBB14_643:
	s_andn2_b64 vcc, exec, s[0:1]
	s_cbranch_vccnz .LBB14_649
; %bb.644:
	s_cmp_gt_i32 s36, 0
	s_cbranch_scc0 .LBB14_646
; %bb.645:
	global_load_sbyte v2, v[0:1], off
	s_mov_b64 s[0:1], 0
	s_waitcnt vmcnt(0)
	v_cvt_f32_i32_e32 v2, v2
	s_branch .LBB14_647
.LBB14_646:
	s_mov_b64 s[0:1], -1
                                        ; implicit-def: $vgpr2
.LBB14_647:
	s_andn2_b64 vcc, exec, s[0:1]
	s_cbranch_vccnz .LBB14_649
; %bb.648:
	global_load_ubyte v0, v[0:1], off
	s_waitcnt vmcnt(0)
	v_cvt_f32_ubyte0_e32 v2, v0
.LBB14_649:
	s_mov_b64 s[0:1], -1
.LBB14_650:
	s_andn2_b64 vcc, exec, s[0:1]
	s_cbranch_vccnz .LBB14_660
; %bb.651:
	s_waitcnt vmcnt(0)
	v_cmp_lt_f32_e32 vcc, s14, v2
	v_mov_b32_e32 v0, 1.0
	s_and_saveexec_b64 s[0:1], vcc
	s_cbranch_execz .LBB14_653
; %bb.652:
	v_add_f32_e32 v0, 0x33d6bf95, v2
	v_div_scale_f32 v1, s[30:31], v0, v0, s14
	v_div_scale_f32 v2, vcc, s14, v0, s14
	v_rcp_f32_e32 v3, v1
	v_fma_f32 v4, -v1, v3, 1.0
	v_fmac_f32_e32 v3, v4, v3
	v_mul_f32_e32 v4, v2, v3
	v_fma_f32 v5, -v1, v4, v2
	v_fmac_f32_e32 v4, v5, v3
	v_fma_f32 v1, -v1, v4, v2
	v_div_fmas_f32 v1, v1, v3, v4
	v_div_fixup_f32 v0, v1, v0, s14
.LBB14_653:
	s_or_b64 exec, exec, s[0:1]
	v_mul_lo_u32 v1, v8, s12
	v_mov_b32_e32 v3, s9
	s_and_b32 s38, s33, 0xff
	s_cmp_lt_i32 s38, 11
	v_ashrrev_i32_e32 v4, 31, v1
	v_add_co_u32_e32 v2, vcc, s8, v1
	v_addc_co_u32_e32 v3, vcc, v3, v4, vcc
	s_cbranch_scc1 .LBB14_661
; %bb.654:
	s_and_b32 s39, 0xffff, s38
	s_cmp_gt_i32 s39, 25
	s_cbranch_scc0 .LBB14_662
; %bb.655:
	s_cmp_gt_i32 s39, 28
	s_cbranch_scc0 .LBB14_663
; %bb.656:
	;; [unrolled: 3-line block ×4, first 2 shown]
	s_mov_b64 s[34:35], 0
	s_mov_b64 s[0:1], -1
	s_cmp_eq_u32 s39, 46
	s_mov_b64 s[30:31], 0
	s_cbranch_scc0 .LBB14_666
; %bb.659:
	v_bfe_u32 v1, v0, 16, 1
	s_movk_i32 s0, 0x7fff
	v_add3_u32 v1, v0, v1, s0
	v_cmp_o_f32_e32 vcc, v0, v0
	v_mov_b32_e32 v4, 0x7fc0
	v_cndmask_b32_sdwa v1, v4, v1, vcc dst_sel:DWORD dst_unused:UNUSED_PAD src0_sel:DWORD src1_sel:WORD_1
	global_store_dword v[2:3], v1, off
	s_mov_b64 s[30:31], -1
	s_mov_b64 s[0:1], 0
	s_branch .LBB14_666
.LBB14_660:
	s_mov_b64 s[34:35], 0
                                        ; implicit-def: $vgpr8
	s_mov_b64 s[0:1], s[22:23]
	s_branch .LBB14_777
.LBB14_661:
	s_mov_b64 s[34:35], -1
	s_mov_b64 s[30:31], 0
	s_mov_b64 s[0:1], s[22:23]
	s_branch .LBB14_735
.LBB14_662:
	s_mov_b64 s[34:35], -1
	s_mov_b64 s[30:31], 0
	s_mov_b64 s[0:1], s[22:23]
	s_branch .LBB14_693
.LBB14_663:
	s_mov_b64 s[34:35], -1
	s_mov_b64 s[30:31], 0
	s_mov_b64 s[0:1], s[22:23]
	s_branch .LBB14_676
.LBB14_664:
	s_mov_b64 s[34:35], -1
	s_mov_b64 s[30:31], 0
	s_mov_b64 s[0:1], s[22:23]
	s_branch .LBB14_672
.LBB14_665:
	s_mov_b64 s[34:35], -1
	s_mov_b64 s[30:31], 0
	s_mov_b64 s[0:1], s[22:23]
.LBB14_666:
	s_and_b64 vcc, exec, s[34:35]
	s_cbranch_vccz .LBB14_671
; %bb.667:
	s_cmp_eq_u32 s39, 44
	s_mov_b64 s[0:1], -1
	s_cbranch_scc0 .LBB14_671
; %bb.668:
	v_bfe_u32 v1, v0, 23, 8
	s_movk_i32 s0, 0xff
	v_cmp_ne_u32_e32 vcc, s0, v1
	v_mov_b32_e32 v4, 0xff
	s_and_saveexec_b64 s[30:31], vcc
; %bb.669:
	s_mov_b32 s0, 0x3fffff
	v_and_b32_e32 v5, 0x400000, v0
	v_and_or_b32 v1, v0, s0, v1
	v_cmp_ne_u32_e32 vcc, 0, v5
	v_cmp_ne_u32_e64 s[0:1], 0, v1
	s_and_b64 s[0:1], vcc, s[0:1]
	v_lshrrev_b32_e32 v4, 23, v0
	v_cndmask_b32_e64 v1, 0, 1, s[0:1]
	v_add_u32_e32 v4, v4, v1
; %bb.670:
	s_or_b64 exec, exec, s[30:31]
	s_mov_b64 s[30:31], -1
	s_mov_b64 s[0:1], 0
	global_store_byte v[2:3], v4, off
.LBB14_671:
	s_mov_b64 s[34:35], 0
.LBB14_672:
	s_and_b64 vcc, exec, s[34:35]
	s_cbranch_vccz .LBB14_675
; %bb.673:
	s_cmp_eq_u32 s39, 29
	s_mov_b64 s[0:1], -1
	s_cbranch_scc0 .LBB14_675
; %bb.674:
	v_trunc_f32_e32 v1, v0
	v_mul_f32_e32 v4, 0x2f800000, v1
	v_floor_f32_e32 v4, v4
	v_fmac_f32_e32 v1, 0xcf800000, v4
	v_cvt_u32_f32_e32 v5, v4
	v_cvt_u32_f32_e32 v4, v1
	s_mov_b64 s[30:31], -1
	s_mov_b64 s[0:1], 0
	s_mov_b64 s[34:35], 0
	global_store_dwordx2 v[2:3], v[4:5], off
	s_branch .LBB14_676
.LBB14_675:
	s_mov_b64 s[34:35], 0
.LBB14_676:
	s_and_b64 vcc, exec, s[34:35]
	s_cbranch_vccz .LBB14_692
; %bb.677:
	s_cmp_lt_i32 s39, 27
	s_mov_b64 s[30:31], -1
	s_cbranch_scc1 .LBB14_683
; %bb.678:
	v_cvt_u32_f32_e32 v1, v0
	s_cmp_gt_i32 s39, 27
	s_cbranch_scc0 .LBB14_680
; %bb.679:
	s_mov_b64 s[30:31], 0
	global_store_dword v[2:3], v1, off
.LBB14_680:
	s_andn2_b64 vcc, exec, s[30:31]
	s_cbranch_vccnz .LBB14_682
; %bb.681:
	global_store_short v[2:3], v1, off
.LBB14_682:
	s_mov_b64 s[30:31], 0
.LBB14_683:
	s_andn2_b64 vcc, exec, s[30:31]
	s_cbranch_vccnz .LBB14_691
; %bb.684:
	v_and_b32_e32 v1, 0x7fffffff, v0
	s_mov_b32 s30, 0x43800000
	v_cmp_gt_u32_e32 vcc, s30, v1
	v_mov_b32_e32 v4, 0x80
	s_and_saveexec_b64 s[30:31], vcc
	s_cbranch_execz .LBB14_690
; %bb.685:
	s_mov_b32 s34, 0x3bffffff
	v_cmp_lt_u32_e32 vcc, s34, v1
	s_mov_b64 s[34:35], 0
                                        ; implicit-def: $vgpr1
	s_and_saveexec_b64 s[36:37], vcc
	s_xor_b64 s[36:37], exec, s[36:37]
	s_cbranch_execz .LBB14_791
; %bb.686:
	v_bfe_u32 v1, v0, 20, 1
	s_mov_b32 s41, 0x487ffff
	v_add3_u32 v1, v0, v1, s41
	s_mov_b64 s[34:35], exec
	v_lshrrev_b32_e32 v1, 20, v1
	s_andn2_saveexec_b64 s[36:37], s[36:37]
	s_cbranch_execnz .LBB14_792
.LBB14_687:
	s_or_b64 exec, exec, s[36:37]
	v_mov_b32_e32 v4, 0
	s_and_saveexec_b64 s[36:37], s[34:35]
.LBB14_688:
	v_lshrrev_b32_e32 v4, 24, v0
	s_movk_i32 s34, 0x80
	v_and_or_b32 v4, v4, s34, v1
.LBB14_689:
	s_or_b64 exec, exec, s[36:37]
.LBB14_690:
	s_or_b64 exec, exec, s[30:31]
	global_store_byte v[2:3], v4, off
.LBB14_691:
	s_mov_b64 s[30:31], -1
.LBB14_692:
	s_mov_b64 s[34:35], 0
.LBB14_693:
	s_and_b64 vcc, exec, s[34:35]
	s_cbranch_vccz .LBB14_734
; %bb.694:
	s_cmp_gt_i32 s39, 22
	s_mov_b64 s[34:35], -1
	s_cbranch_scc0 .LBB14_726
; %bb.695:
	s_cmp_lt_i32 s39, 24
	s_mov_b64 s[30:31], -1
	s_cbranch_scc1 .LBB14_715
; %bb.696:
	s_cmp_gt_i32 s39, 24
	s_cbranch_scc0 .LBB14_704
; %bb.697:
	v_and_b32_e32 v1, 0x7fffffff, v0
	s_mov_b32 s30, 0x47800000
	v_cmp_gt_u32_e32 vcc, s30, v1
	v_mov_b32_e32 v4, 0x80
	s_and_saveexec_b64 s[30:31], vcc
	s_cbranch_execz .LBB14_703
; %bb.698:
	s_mov_b32 s34, 0x37ffffff
	v_cmp_lt_u32_e32 vcc, s34, v1
	s_mov_b64 s[34:35], 0
                                        ; implicit-def: $vgpr1
	s_and_saveexec_b64 s[36:37], vcc
	s_xor_b64 s[36:37], exec, s[36:37]
	s_cbranch_execz .LBB14_794
; %bb.699:
	v_bfe_u32 v1, v0, 21, 1
	s_mov_b32 s41, 0x88fffff
	v_add3_u32 v1, v0, v1, s41
	s_mov_b64 s[34:35], exec
	v_lshrrev_b32_e32 v1, 21, v1
	s_andn2_saveexec_b64 s[36:37], s[36:37]
	s_cbranch_execnz .LBB14_795
.LBB14_700:
	s_or_b64 exec, exec, s[36:37]
	v_mov_b32_e32 v4, 0
	s_and_saveexec_b64 s[36:37], s[34:35]
.LBB14_701:
	v_lshrrev_b32_e32 v4, 24, v0
	s_movk_i32 s34, 0x80
	v_and_or_b32 v4, v4, s34, v1
.LBB14_702:
	s_or_b64 exec, exec, s[36:37]
.LBB14_703:
	s_or_b64 exec, exec, s[30:31]
	s_mov_b64 s[30:31], 0
	global_store_byte v[2:3], v4, off
.LBB14_704:
	s_and_b64 vcc, exec, s[30:31]
	s_cbranch_vccz .LBB14_714
; %bb.705:
	v_and_b32_e32 v4, 0x7fffffff, v0
	s_mov_b32 s30, 0x43f00000
	v_cmp_gt_u32_e32 vcc, s30, v4
                                        ; implicit-def: $vgpr1
	s_and_saveexec_b64 s[30:31], vcc
	s_xor_b64 s[30:31], exec, s[30:31]
	s_cbranch_execz .LBB14_711
; %bb.706:
	s_mov_b32 s34, 0x3c7fffff
	v_cmp_lt_u32_e32 vcc, s34, v4
                                        ; implicit-def: $vgpr1
	s_and_saveexec_b64 s[34:35], vcc
	s_xor_b64 s[34:35], exec, s[34:35]
; %bb.707:
	v_bfe_u32 v1, v0, 20, 1
	s_mov_b32 s36, 0x407ffff
	v_add3_u32 v1, v0, v1, s36
	v_lshrrev_b32_e32 v4, 20, v1
	v_and_b32_e32 v1, 0xff00000, v1
	s_mov_b32 s36, 0x7f00000
	v_mov_b32_e32 v5, 0x7e
	v_cmp_ne_u32_e32 vcc, s36, v1
	v_cndmask_b32_e32 v1, v5, v4, vcc
; %bb.708:
	s_andn2_saveexec_b64 s[34:35], s[34:35]
; %bb.709:
	s_mov_b32 s36, 0x46800000
	v_add_f32_e64 v1, |v0|, s36
; %bb.710:
	s_or_b64 exec, exec, s[34:35]
                                        ; implicit-def: $vgpr4
.LBB14_711:
	s_andn2_saveexec_b64 s[30:31], s[30:31]
; %bb.712:
	s_mov_b32 s34, 0x7f800000
	v_mov_b32_e32 v1, 0x7e
	v_mov_b32_e32 v5, 0x7f
	v_cmp_lt_u32_e32 vcc, s34, v4
	v_cndmask_b32_e32 v1, v1, v5, vcc
; %bb.713:
	s_or_b64 exec, exec, s[30:31]
	v_lshrrev_b32_e32 v4, 24, v0
	s_movk_i32 s30, 0x80
	v_and_or_b32 v1, v4, s30, v1
	global_store_byte v[2:3], v1, off
.LBB14_714:
	s_mov_b64 s[30:31], 0
.LBB14_715:
	s_andn2_b64 vcc, exec, s[30:31]
	s_cbranch_vccnz .LBB14_725
; %bb.716:
	v_and_b32_e32 v4, 0x7fffffff, v0
	s_mov_b32 s30, 0x47800000
	v_cmp_gt_u32_e32 vcc, s30, v4
                                        ; implicit-def: $vgpr1
	s_and_saveexec_b64 s[30:31], vcc
	s_xor_b64 s[30:31], exec, s[30:31]
	s_cbranch_execz .LBB14_722
; %bb.717:
	s_mov_b32 s34, 0x387fffff
	v_cmp_lt_u32_e32 vcc, s34, v4
                                        ; implicit-def: $vgpr1
	s_and_saveexec_b64 s[34:35], vcc
	s_xor_b64 s[34:35], exec, s[34:35]
; %bb.718:
	v_bfe_u32 v1, v0, 21, 1
	s_mov_b32 s36, 0x80fffff
	v_add3_u32 v1, v0, v1, s36
	v_lshrrev_b32_e32 v1, 21, v1
; %bb.719:
	s_andn2_saveexec_b64 s[34:35], s[34:35]
; %bb.720:
	s_mov_b32 s36, 0x43000000
	v_add_f32_e64 v1, |v0|, s36
; %bb.721:
	s_or_b64 exec, exec, s[34:35]
                                        ; implicit-def: $vgpr4
.LBB14_722:
	s_andn2_saveexec_b64 s[30:31], s[30:31]
; %bb.723:
	s_mov_b32 s34, 0x7f800000
	v_mov_b32_e32 v1, 0x7c
	v_mov_b32_e32 v5, 0x7f
	v_cmp_lt_u32_e32 vcc, s34, v4
	v_cndmask_b32_e32 v1, v1, v5, vcc
; %bb.724:
	s_or_b64 exec, exec, s[30:31]
	v_lshrrev_b32_e32 v4, 24, v0
	s_movk_i32 s30, 0x80
	v_and_or_b32 v1, v4, s30, v1
	global_store_byte v[2:3], v1, off
.LBB14_725:
	s_mov_b64 s[34:35], 0
	s_mov_b64 s[30:31], -1
.LBB14_726:
	s_andn2_b64 vcc, exec, s[34:35]
	s_cbranch_vccnz .LBB14_734
; %bb.727:
	s_cmp_gt_i32 s39, 14
	s_mov_b64 s[34:35], -1
	s_cbranch_scc0 .LBB14_731
; %bb.728:
	s_cmp_eq_u32 s39, 15
	s_mov_b64 s[0:1], -1
	s_cbranch_scc0 .LBB14_730
; %bb.729:
	v_bfe_u32 v1, v0, 16, 1
	s_movk_i32 s0, 0x7fff
	v_add3_u32 v1, v0, v1, s0
	v_cmp_o_f32_e32 vcc, v0, v0
	v_mov_b32_e32 v4, 0x7fc0
	v_cndmask_b32_sdwa v1, v4, v1, vcc dst_sel:DWORD dst_unused:UNUSED_PAD src0_sel:DWORD src1_sel:WORD_1
	global_store_short v[2:3], v1, off
	s_mov_b64 s[30:31], -1
	s_mov_b64 s[0:1], 0
.LBB14_730:
	s_mov_b64 s[34:35], 0
.LBB14_731:
	s_and_b64 vcc, exec, s[34:35]
	s_cbranch_vccz .LBB14_734
; %bb.732:
	s_cmp_eq_u32 s39, 11
	s_mov_b64 s[0:1], -1
	s_cbranch_scc0 .LBB14_734
; %bb.733:
	v_cmp_neq_f32_e32 vcc, 0, v0
	v_cndmask_b32_e64 v1, 0, 1, vcc
	s_mov_b64 s[30:31], -1
	s_mov_b64 s[0:1], 0
	global_store_byte v[2:3], v1, off
.LBB14_734:
	s_mov_b64 s[34:35], 0
.LBB14_735:
	s_and_b64 vcc, exec, s[34:35]
	s_cbranch_vccz .LBB14_774
; %bb.736:
	s_and_b32 s34, 0xffff, s38
	s_cmp_lt_i32 s34, 5
	s_mov_b64 s[30:31], -1
	s_cbranch_scc1 .LBB14_757
; %bb.737:
	s_cmp_lt_i32 s34, 8
	s_cbranch_scc1 .LBB14_747
; %bb.738:
	s_cmp_lt_i32 s34, 9
	s_cbranch_scc1 .LBB14_744
; %bb.739:
	s_cmp_gt_i32 s34, 9
	s_cbranch_scc0 .LBB14_741
; %bb.740:
	v_cvt_f64_f32_e32 v[4:5], v0
	v_mov_b32_e32 v6, 0
	v_mov_b32_e32 v7, v6
	s_mov_b64 s[30:31], 0
	global_store_dwordx4 v[2:3], v[4:7], off
.LBB14_741:
	s_andn2_b64 vcc, exec, s[30:31]
	s_cbranch_vccnz .LBB14_743
; %bb.742:
	v_mov_b32_e32 v1, 0
	global_store_dwordx2 v[2:3], v[0:1], off
.LBB14_743:
	s_mov_b64 s[30:31], 0
.LBB14_744:
	s_andn2_b64 vcc, exec, s[30:31]
	s_cbranch_vccnz .LBB14_746
; %bb.745:
	v_cvt_f16_f32_e32 v1, v0
	global_store_dword v[2:3], v1, off
.LBB14_746:
	s_mov_b64 s[30:31], 0
.LBB14_747:
	s_andn2_b64 vcc, exec, s[30:31]
	s_cbranch_vccnz .LBB14_756
; %bb.748:
	s_cmp_lt_i32 s34, 6
	s_mov_b64 s[30:31], -1
	s_cbranch_scc1 .LBB14_754
; %bb.749:
	s_cmp_gt_i32 s34, 6
	s_cbranch_scc0 .LBB14_751
; %bb.750:
	v_cvt_f64_f32_e32 v[4:5], v0
	s_mov_b64 s[30:31], 0
	global_store_dwordx2 v[2:3], v[4:5], off
.LBB14_751:
	s_andn2_b64 vcc, exec, s[30:31]
	s_cbranch_vccnz .LBB14_753
; %bb.752:
	global_store_dword v[2:3], v0, off
.LBB14_753:
	s_mov_b64 s[30:31], 0
.LBB14_754:
	s_andn2_b64 vcc, exec, s[30:31]
	s_cbranch_vccnz .LBB14_756
; %bb.755:
	v_cvt_f16_f32_e32 v1, v0
	global_store_short v[2:3], v1, off
.LBB14_756:
	s_mov_b64 s[30:31], 0
.LBB14_757:
	s_andn2_b64 vcc, exec, s[30:31]
	s_cbranch_vccnz .LBB14_773
; %bb.758:
	s_cmp_lt_i32 s34, 2
	s_mov_b64 s[30:31], -1
	s_cbranch_scc1 .LBB14_768
; %bb.759:
	s_cmp_lt_i32 s34, 3
	s_cbranch_scc1 .LBB14_765
; %bb.760:
	s_cmp_gt_i32 s34, 3
	s_cbranch_scc0 .LBB14_762
; %bb.761:
	v_trunc_f32_e32 v1, v0
	s_mov_b32 s30, 0x2f800000
	v_mul_f32_e64 v4, |v1|, s30
	v_floor_f32_e32 v4, v4
	s_mov_b32 s30, 0xcf800000
	v_cvt_u32_f32_e32 v5, v4
	v_fma_f32 v4, v4, s30, |v1|
	v_cvt_u32_f32_e32 v4, v4
	v_ashrrev_i32_e32 v1, 31, v1
	v_xor_b32_e32 v5, v5, v1
	s_mov_b64 s[30:31], 0
	v_xor_b32_e32 v4, v4, v1
	v_sub_co_u32_e32 v4, vcc, v4, v1
	v_subb_co_u32_e32 v5, vcc, v5, v1, vcc
	global_store_dwordx2 v[2:3], v[4:5], off
.LBB14_762:
	s_andn2_b64 vcc, exec, s[30:31]
	s_cbranch_vccnz .LBB14_764
; %bb.763:
	v_cvt_i32_f32_e32 v1, v0
	global_store_dword v[2:3], v1, off
.LBB14_764:
	s_mov_b64 s[30:31], 0
.LBB14_765:
	s_andn2_b64 vcc, exec, s[30:31]
	s_cbranch_vccnz .LBB14_767
; %bb.766:
	v_cvt_i32_f32_e32 v1, v0
	global_store_short v[2:3], v1, off
.LBB14_767:
	s_mov_b64 s[30:31], 0
.LBB14_768:
	s_andn2_b64 vcc, exec, s[30:31]
	s_cbranch_vccnz .LBB14_773
; %bb.769:
	s_cmp_gt_i32 s34, 0
	s_mov_b64 s[30:31], -1
	s_cbranch_scc0 .LBB14_771
; %bb.770:
	v_cvt_i32_f32_e32 v1, v0
	s_mov_b64 s[30:31], 0
	global_store_byte v[2:3], v1, off
.LBB14_771:
	s_andn2_b64 vcc, exec, s[30:31]
	s_cbranch_vccnz .LBB14_773
; %bb.772:
	v_trunc_f32_e32 v0, v0
	s_mov_b32 s30, 0x2f800000
	v_mul_f32_e64 v1, |v0|, s30
	v_floor_f32_e32 v1, v1
	s_mov_b32 s30, 0xcf800000
	v_fma_f32 v1, v1, s30, |v0|
	v_cvt_u32_f32_e32 v1, v1
	v_ashrrev_i32_e32 v0, 31, v0
	v_xor_b32_e32 v1, v1, v0
	v_sub_u32_e32 v0, v1, v0
	global_store_byte v[2:3], v0, off
.LBB14_773:
	s_mov_b64 s[30:31], -1
.LBB14_774:
	s_andn2_b64 vcc, exec, s[30:31]
	s_cbranch_vccnz .LBB14_776
; %bb.775:
	v_add_u32_e32 v8, 0x80, v8
	s_mov_b64 s[34:35], -1
	s_branch .LBB14_777
.LBB14_776:
	s_mov_b64 s[34:35], 0
                                        ; implicit-def: $vgpr8
.LBB14_777:
	s_andn2_b64 s[30:31], s[22:23], exec
	s_and_b64 s[0:1], s[0:1], exec
	s_or_b64 s[30:31], s[30:31], s[0:1]
	s_andn2_b64 s[0:1], s[20:21], exec
	s_and_b64 s[28:29], s[28:29], exec
	s_or_b64 s[0:1], s[0:1], s[28:29]
	s_orn2_b64 s[36:37], s[34:35], exec
.LBB14_778:
	s_or_b64 exec, exec, s[26:27]
	s_mov_b64 s[34:35], 0
	s_mov_b64 s[28:29], 0
	s_mov_b64 s[38:39], 0
                                        ; implicit-def: $vgpr0_vgpr1
                                        ; implicit-def: $vgpr4
	s_and_saveexec_b64 s[26:27], s[36:37]
	s_cbranch_execz .LBB14_863
; %bb.779:
	v_cmp_gt_i32_e32 vcc, s40, v8
	s_mov_b64 s[36:37], 0
	s_mov_b64 s[40:41], s[0:1]
	s_mov_b64 s[42:43], 0
                                        ; implicit-def: $vgpr0_vgpr1
                                        ; implicit-def: $vgpr4
	s_and_saveexec_b64 s[28:29], vcc
	s_cbranch_execz .LBB14_862
; %bb.780:
	v_mul_lo_u32 v0, v8, s13
	v_mov_b32_e32 v1, s11
	s_and_b32 s44, 0xffff, s15
	s_cmp_lt_i32 s44, 11
	s_waitcnt vmcnt(0)
	v_ashrrev_i32_e32 v2, 31, v0
	v_add_co_u32_e32 v0, vcc, s10, v0
	v_addc_co_u32_e32 v1, vcc, v1, v2, vcc
	s_cbranch_scc1 .LBB14_787
; %bb.781:
	s_cmp_gt_i32 s44, 25
	s_cbranch_scc0 .LBB14_788
; %bb.782:
	s_cmp_gt_i32 s44, 28
	s_cbranch_scc0 .LBB14_789
	;; [unrolled: 3-line block ×4, first 2 shown]
; %bb.785:
	s_cmp_eq_u32 s44, 46
	s_mov_b64 s[40:41], 0
	s_cbranch_scc0 .LBB14_796
; %bb.786:
	global_load_dword v2, v[0:1], off
	s_mov_b64 s[38:39], -1
	s_waitcnt vmcnt(0)
	v_lshlrev_b32_e32 v4, 16, v2
	s_branch .LBB14_798
.LBB14_787:
	s_mov_b64 s[40:41], -1
                                        ; implicit-def: $vgpr4
	s_mov_b64 s[34:35], s[0:1]
	s_branch .LBB14_861
.LBB14_788:
	s_mov_b64 s[40:41], -1
	s_mov_b64 s[34:35], s[0:1]
                                        ; implicit-def: $vgpr4
	s_branch .LBB14_827
.LBB14_789:
	s_mov_b64 s[40:41], -1
	s_mov_b64 s[34:35], s[0:1]
                                        ; implicit-def: $vgpr4
	s_branch .LBB14_808
.LBB14_790:
	s_mov_b64 s[40:41], -1
	s_mov_b64 s[34:35], s[0:1]
                                        ; implicit-def: $vgpr4
	s_branch .LBB14_803
.LBB14_791:
	s_andn2_saveexec_b64 s[36:37], s[36:37]
	s_cbranch_execz .LBB14_687
.LBB14_792:
	s_mov_b32 s41, 0x46000000
	v_add_f32_e64 v1, |v0|, s41
	v_and_b32_e32 v1, 0xff, v1
	v_cmp_ne_u32_e32 vcc, 0, v1
	s_andn2_b64 s[34:35], s[34:35], exec
	s_and_b64 s[42:43], vcc, exec
	s_or_b64 s[34:35], s[34:35], s[42:43]
	s_or_b64 exec, exec, s[36:37]
	v_mov_b32_e32 v4, 0
	s_and_saveexec_b64 s[36:37], s[34:35]
	s_cbranch_execnz .LBB14_688
	s_branch .LBB14_689
.LBB14_793:
	s_mov_b64 s[40:41], -1
	s_mov_b64 s[34:35], s[0:1]
	s_branch .LBB14_797
.LBB14_794:
	s_andn2_saveexec_b64 s[36:37], s[36:37]
	s_cbranch_execz .LBB14_700
.LBB14_795:
	s_mov_b32 s41, 0x42800000
	v_add_f32_e64 v1, |v0|, s41
	v_and_b32_e32 v1, 0xff, v1
	v_cmp_ne_u32_e32 vcc, 0, v1
	s_andn2_b64 s[34:35], s[34:35], exec
	s_and_b64 s[42:43], vcc, exec
	s_or_b64 s[34:35], s[34:35], s[42:43]
	s_or_b64 exec, exec, s[36:37]
	v_mov_b32_e32 v4, 0
	s_and_saveexec_b64 s[36:37], s[34:35]
	s_cbranch_execnz .LBB14_701
	s_branch .LBB14_702
.LBB14_796:
	s_mov_b64 s[34:35], -1
.LBB14_797:
                                        ; implicit-def: $vgpr4
.LBB14_798:
	s_and_b64 vcc, exec, s[40:41]
	s_cbranch_vccz .LBB14_802
; %bb.799:
	s_cmp_eq_u32 s44, 44
	s_cbranch_scc0 .LBB14_801
; %bb.800:
	global_load_ubyte v2, v[0:1], off
	s_movk_i32 s38, 0xff
	v_mov_b32_e32 v3, 0x7f800001
	v_mov_b32_e32 v4, 0x400000
	s_mov_b64 s[34:35], 0
	s_waitcnt vmcnt(0)
	v_lshlrev_b32_e32 v5, 23, v2
	v_cmp_ne_u32_e32 vcc, s38, v2
	v_cndmask_b32_e32 v3, v3, v5, vcc
	v_cmp_ne_u32_e32 vcc, 0, v2
	v_cndmask_b32_e32 v4, v4, v3, vcc
	s_mov_b64 s[38:39], -1
	s_branch .LBB14_802
.LBB14_801:
	s_mov_b64 s[34:35], -1
                                        ; implicit-def: $vgpr4
.LBB14_802:
	s_mov_b64 s[40:41], 0
.LBB14_803:
	s_and_b64 vcc, exec, s[40:41]
	s_cbranch_vccz .LBB14_807
; %bb.804:
	s_cmp_eq_u32 s44, 29
	s_cbranch_scc0 .LBB14_806
; %bb.805:
	global_load_dwordx2 v[2:3], v[0:1], off
	s_mov_b64 s[34:35], 0
	s_mov_b64 s[38:39], -1
	s_mov_b64 s[40:41], 0
	s_waitcnt vmcnt(0)
	v_ffbh_u32_e32 v4, v3
	v_min_u32_e32 v4, 32, v4
	v_lshlrev_b64 v[2:3], v4, v[2:3]
	v_min_u32_e32 v2, 1, v2
	v_or_b32_e32 v2, v3, v2
	v_cvt_f32_u32_e32 v2, v2
	v_sub_u32_e32 v3, 32, v4
	v_ldexp_f32 v4, v2, v3
	s_branch .LBB14_808
.LBB14_806:
	s_mov_b64 s[34:35], -1
                                        ; implicit-def: $vgpr4
.LBB14_807:
	s_mov_b64 s[40:41], 0
.LBB14_808:
	s_and_b64 vcc, exec, s[40:41]
	s_cbranch_vccz .LBB14_826
; %bb.809:
	s_cmp_lt_i32 s44, 27
	s_cbranch_scc1 .LBB14_812
; %bb.810:
	s_cmp_gt_i32 s44, 27
	s_cbranch_scc0 .LBB14_813
; %bb.811:
	global_load_dword v2, v[0:1], off
	s_mov_b64 s[38:39], 0
	s_waitcnt vmcnt(0)
	v_cvt_f32_u32_e32 v4, v2
	s_branch .LBB14_814
.LBB14_812:
	s_mov_b64 s[38:39], -1
                                        ; implicit-def: $vgpr4
	s_branch .LBB14_817
.LBB14_813:
	s_mov_b64 s[38:39], -1
                                        ; implicit-def: $vgpr4
.LBB14_814:
	s_andn2_b64 vcc, exec, s[38:39]
	s_cbranch_vccnz .LBB14_816
; %bb.815:
	global_load_ushort v2, v[0:1], off
	s_waitcnt vmcnt(0)
	v_cvt_f32_u32_e32 v4, v2
.LBB14_816:
	s_mov_b64 s[38:39], 0
.LBB14_817:
	s_andn2_b64 vcc, exec, s[38:39]
	s_cbranch_vccnz .LBB14_825
; %bb.818:
	global_load_ubyte v2, v[0:1], off
	s_movk_i32 s38, 0x7f
	s_waitcnt vmcnt(0)
	v_cmp_lt_i16_e32 vcc, s38, v2
	s_mov_b64 s[38:39], 0
	s_and_saveexec_b64 s[40:41], vcc
	s_xor_b64 s[40:41], exec, s[40:41]
	s_cbranch_execz .LBB14_839
; %bb.819:
	s_movk_i32 s38, 0x80
	v_cmp_eq_u16_e32 vcc, s38, v2
	s_mov_b64 s[38:39], -1
	s_and_saveexec_b64 s[42:43], vcc
; %bb.820:
	s_xor_b64 s[38:39], exec, -1
; %bb.821:
	s_or_b64 exec, exec, s[42:43]
	s_and_b64 s[38:39], s[38:39], exec
	s_or_saveexec_b64 s[40:41], s[40:41]
	v_mov_b32_e32 v4, 0x7f800001
	s_xor_b64 exec, exec, s[40:41]
	s_cbranch_execnz .LBB14_840
.LBB14_822:
	s_or_b64 exec, exec, s[40:41]
	s_and_saveexec_b64 s[40:41], s[38:39]
	s_cbranch_execz .LBB14_824
.LBB14_823:
	v_lshlrev_b32_e32 v3, 24, v2
	v_and_b32_e32 v2, 0xffff, v2
	v_and_b32_e32 v4, 7, v2
	v_ffbh_u32_e32 v6, v4
	v_min_u32_e32 v6, 32, v6
	v_subrev_u32_e32 v7, 28, v6
	v_bfe_u32 v5, v2, 3, 4
	v_lshlrev_b32_e32 v2, v7, v2
	v_sub_u32_e32 v6, 29, v6
	v_and_b32_e32 v2, 7, v2
	v_cmp_eq_u32_e32 vcc, 0, v5
	v_cndmask_b32_e32 v5, v5, v6, vcc
	v_cndmask_b32_e32 v2, v4, v2, vcc
	v_mov_b32_e32 v4, 0x3b800000
	v_lshlrev_b32_e32 v2, 20, v2
	v_and_b32_e32 v3, 0x80000000, v3
	v_lshl_add_u32 v4, v5, 23, v4
	v_or3_b32 v4, v3, v4, v2
.LBB14_824:
	s_or_b64 exec, exec, s[40:41]
.LBB14_825:
	s_mov_b64 s[38:39], -1
.LBB14_826:
	s_mov_b64 s[40:41], 0
.LBB14_827:
	s_and_b64 vcc, exec, s[40:41]
	s_cbranch_vccz .LBB14_860
; %bb.828:
	s_cmp_gt_i32 s44, 22
	s_cbranch_scc0 .LBB14_838
; %bb.829:
	s_cmp_lt_i32 s44, 24
	s_cbranch_scc1 .LBB14_841
; %bb.830:
	s_cmp_gt_i32 s44, 24
	s_cbranch_scc0 .LBB14_842
; %bb.831:
	global_load_ubyte v2, v[0:1], off
	s_movk_i32 s36, 0x7f
	s_waitcnt vmcnt(0)
	v_cmp_lt_i16_e32 vcc, s36, v2
	s_mov_b64 s[36:37], 0
	s_and_saveexec_b64 s[38:39], vcc
	s_xor_b64 s[38:39], exec, s[38:39]
	s_cbranch_execz .LBB14_854
; %bb.832:
	s_movk_i32 s36, 0x80
	v_cmp_eq_u16_e32 vcc, s36, v2
	s_mov_b64 s[36:37], -1
	s_and_saveexec_b64 s[40:41], vcc
; %bb.833:
	s_xor_b64 s[36:37], exec, -1
; %bb.834:
	s_or_b64 exec, exec, s[40:41]
	s_and_b64 s[36:37], s[36:37], exec
	s_or_saveexec_b64 s[38:39], s[38:39]
	v_mov_b32_e32 v4, 0x7f800001
	s_xor_b64 exec, exec, s[38:39]
	s_cbranch_execnz .LBB14_855
.LBB14_835:
	s_or_b64 exec, exec, s[38:39]
	s_and_saveexec_b64 s[38:39], s[36:37]
	s_cbranch_execz .LBB14_837
.LBB14_836:
	v_lshlrev_b32_e32 v3, 24, v2
	v_and_b32_e32 v2, 0xffff, v2
	v_and_b32_e32 v4, 3, v2
	v_ffbh_u32_e32 v6, v4
	v_min_u32_e32 v6, 32, v6
	v_subrev_u32_e32 v7, 29, v6
	v_bfe_u32 v5, v2, 2, 5
	v_lshlrev_b32_e32 v2, v7, v2
	v_sub_u32_e32 v6, 30, v6
	v_and_b32_e32 v2, 3, v2
	v_cmp_eq_u32_e32 vcc, 0, v5
	v_cndmask_b32_e32 v5, v5, v6, vcc
	v_cndmask_b32_e32 v2, v4, v2, vcc
	v_mov_b32_e32 v4, 0x37800000
	v_lshlrev_b32_e32 v2, 21, v2
	v_and_b32_e32 v3, 0x80000000, v3
	v_lshl_add_u32 v4, v5, 23, v4
	v_or3_b32 v4, v3, v4, v2
.LBB14_837:
	s_or_b64 exec, exec, s[38:39]
	s_mov_b64 s[36:37], 0
	s_branch .LBB14_843
.LBB14_838:
	s_mov_b64 s[36:37], -1
                                        ; implicit-def: $vgpr4
	s_branch .LBB14_849
.LBB14_839:
	s_or_saveexec_b64 s[40:41], s[40:41]
	v_mov_b32_e32 v4, 0x7f800001
	s_xor_b64 exec, exec, s[40:41]
	s_cbranch_execz .LBB14_822
.LBB14_840:
	v_cmp_ne_u16_e32 vcc, 0, v2
	s_andn2_b64 s[38:39], s[38:39], exec
	s_and_b64 s[42:43], vcc, exec
	v_mov_b32_e32 v4, 0
	s_or_b64 s[38:39], s[38:39], s[42:43]
	s_or_b64 exec, exec, s[40:41]
	s_and_saveexec_b64 s[40:41], s[38:39]
	s_cbranch_execnz .LBB14_823
	s_branch .LBB14_824
.LBB14_841:
	s_mov_b64 s[36:37], -1
                                        ; implicit-def: $vgpr4
	s_branch .LBB14_846
.LBB14_842:
	s_mov_b64 s[36:37], -1
                                        ; implicit-def: $vgpr4
.LBB14_843:
	s_and_b64 vcc, exec, s[36:37]
	s_cbranch_vccz .LBB14_845
; %bb.844:
	global_load_ubyte v2, v[0:1], off
	s_mov_b32 s36, 0x7f800000
	s_waitcnt vmcnt(0)
	v_lshlrev_b32_e32 v2, 24, v2
	v_and_b32_e32 v3, 0x7f000000, v2
	v_ffbh_u32_e32 v4, v3
	v_min_u32_e32 v4, 32, v4
	v_sub_u32_e64 v4, v4, 4 clamp
	v_lshlrev_b32_e32 v6, v4, v3
	v_lshlrev_b32_e32 v4, 23, v4
	v_lshrrev_b32_e32 v6, 4, v6
	v_add_u32_e32 v5, 0x1000000, v3
	v_sub_u32_e32 v4, v6, v4
	v_ashrrev_i32_e32 v5, 8, v5
	v_add_u32_e32 v4, 0x3c000000, v4
	v_and_or_b32 v4, v5, s36, v4
	v_cmp_ne_u32_e32 vcc, 0, v3
	v_cndmask_b32_e32 v3, 0, v4, vcc
	s_brev_b32 s36, 1
	v_and_or_b32 v4, v2, s36, v3
.LBB14_845:
	s_mov_b64 s[36:37], 0
.LBB14_846:
	s_andn2_b64 vcc, exec, s[36:37]
	s_cbranch_vccnz .LBB14_848
; %bb.847:
	global_load_ubyte v2, v[0:1], off
	s_movk_i32 s36, 0x7f00
	s_brev_b32 s37, 16
	s_waitcnt vmcnt(0)
	v_lshlrev_b16_e32 v3, 8, v2
	v_lshlrev_b32_e32 v2, 25, v2
	v_lshrrev_b32_e32 v4, 4, v2
	v_and_or_b32 v5, v3, s36, 0.5
	v_or_b32_e32 v4, 0x70000000, v4
	v_add_f32_e32 v5, -0.5, v5
	v_mul_f32_e32 v4, 0x7800000, v4
	v_cmp_gt_u32_e32 vcc, s37, v2
	v_bfe_i32 v3, v3, 0, 16
	v_cndmask_b32_e32 v2, v4, v5, vcc
	s_brev_b32 s36, 1
	v_and_or_b32 v4, v3, s36, v2
.LBB14_848:
	s_mov_b64 s[36:37], 0
	s_mov_b64 s[38:39], -1
.LBB14_849:
	s_andn2_b64 vcc, exec, s[36:37]
	s_mov_b64 s[36:37], 0
	s_cbranch_vccnz .LBB14_860
; %bb.850:
	s_cmp_gt_i32 s44, 14
	s_cbranch_scc0 .LBB14_853
; %bb.851:
	s_cmp_eq_u32 s44, 15
	s_cbranch_scc0 .LBB14_856
; %bb.852:
	global_load_ushort v2, v[0:1], off
	s_mov_b64 s[34:35], 0
	s_mov_b64 s[38:39], -1
	s_waitcnt vmcnt(0)
	v_lshlrev_b32_e32 v4, 16, v2
	s_branch .LBB14_857
.LBB14_853:
	s_mov_b64 s[40:41], -1
                                        ; implicit-def: $vgpr4
	s_branch .LBB14_858
.LBB14_854:
	s_or_saveexec_b64 s[38:39], s[38:39]
	v_mov_b32_e32 v4, 0x7f800001
	s_xor_b64 exec, exec, s[38:39]
	s_cbranch_execz .LBB14_835
.LBB14_855:
	v_cmp_ne_u16_e32 vcc, 0, v2
	s_andn2_b64 s[36:37], s[36:37], exec
	s_and_b64 s[40:41], vcc, exec
	v_mov_b32_e32 v4, 0
	s_or_b64 s[36:37], s[36:37], s[40:41]
	s_or_b64 exec, exec, s[38:39]
	s_and_saveexec_b64 s[38:39], s[36:37]
	s_cbranch_execnz .LBB14_836
	s_branch .LBB14_837
.LBB14_856:
	s_mov_b64 s[34:35], -1
                                        ; implicit-def: $vgpr4
.LBB14_857:
	s_mov_b64 s[40:41], 0
.LBB14_858:
	s_and_b64 vcc, exec, s[40:41]
	s_cbranch_vccz .LBB14_860
; %bb.859:
	s_cmp_lg_u32 s44, 11
	s_cselect_b64 s[40:41], -1, 0
	s_andn2_b64 s[34:35], s[34:35], exec
	s_and_b64 s[40:41], s[40:41], exec
	s_mov_b64 s[36:37], -1
	s_or_b64 s[34:35], s[34:35], s[40:41]
.LBB14_860:
	s_mov_b64 s[40:41], 0
.LBB14_861:
	s_and_b64 s[42:43], s[40:41], exec
	s_andn2_b64 s[40:41], s[0:1], exec
	s_and_b64 s[34:35], s[34:35], exec
	s_and_b64 s[38:39], s[38:39], exec
	;; [unrolled: 1-line block ×3, first 2 shown]
	s_or_b64 s[40:41], s[40:41], s[34:35]
.LBB14_862:
	s_or_b64 exec, exec, s[28:29]
	s_and_b64 s[34:35], s[36:37], exec
	s_andn2_b64 s[0:1], s[0:1], exec
	s_and_b64 s[36:37], s[40:41], exec
	s_and_b64 s[38:39], s[38:39], exec
	;; [unrolled: 1-line block ×3, first 2 shown]
	s_or_b64 s[0:1], s[0:1], s[36:37]
.LBB14_863:
	s_or_b64 exec, exec, s[26:27]
	s_andn2_b64 s[22:23], s[22:23], exec
	s_and_b64 s[26:27], s[30:31], exec
	s_andn2_b64 s[20:21], s[20:21], exec
	s_and_b64 s[0:1], s[0:1], exec
	s_or_b64 s[22:23], s[22:23], s[26:27]
	s_and_b64 s[30:31], s[38:39], exec
	s_and_b64 s[28:29], s[28:29], exec
	;; [unrolled: 1-line block ×3, first 2 shown]
	s_or_b64 s[20:21], s[20:21], s[0:1]
.LBB14_864:
	s_or_b64 exec, exec, s[24:25]
	s_andn2_b64 s[0:1], s[6:7], exec
	s_and_b64 s[6:7], s[22:23], exec
	s_andn2_b64 s[16:17], s[16:17], exec
	s_and_b64 s[20:21], s[20:21], exec
	s_or_b64 s[6:7], s[0:1], s[6:7]
	s_and_b64 s[0:1], s[30:31], exec
	s_and_b64 s[24:25], s[28:29], exec
	;; [unrolled: 1-line block ×3, first 2 shown]
	s_or_b64 s[16:17], s[16:17], s[20:21]
	s_or_b64 exec, exec, s[18:19]
	s_mov_b64 s[18:19], 0
	s_and_saveexec_b64 s[20:21], s[16:17]
	s_cbranch_execz .LBB14_264
.LBB14_865:
	s_mov_b64 s[18:19], exec
	s_andn2_b64 s[22:23], s[22:23], exec
	s_trap 2
	s_or_b64 exec, exec, s[20:21]
	s_and_saveexec_b64 s[16:17], s[22:23]
	s_xor_b64 s[16:17], exec, s[16:17]
	s_cbranch_execnz .LBB14_265
.LBB14_866:
	s_or_b64 exec, exec, s[16:17]
	s_and_saveexec_b64 s[16:17], s[24:25]
	s_cbranch_execz .LBB14_912
.LBB14_867:
	s_sext_i32_i16 s20, s15
	s_cmp_lt_i32 s20, 5
	s_cbranch_scc1 .LBB14_872
; %bb.868:
	s_cmp_lt_i32 s20, 8
	s_cbranch_scc1 .LBB14_873
; %bb.869:
	;; [unrolled: 3-line block ×3, first 2 shown]
	s_cmp_gt_i32 s20, 9
	s_cbranch_scc0 .LBB14_875
; %bb.871:
	global_load_dwordx2 v[2:3], v[0:1], off
	s_mov_b64 s[20:21], 0
	s_waitcnt vmcnt(0)
	v_cvt_f32_f64_e32 v4, v[2:3]
	s_branch .LBB14_876
.LBB14_872:
                                        ; implicit-def: $vgpr4
	s_branch .LBB14_893
.LBB14_873:
                                        ; implicit-def: $vgpr4
	s_branch .LBB14_882
.LBB14_874:
	s_mov_b64 s[20:21], -1
                                        ; implicit-def: $vgpr4
	s_branch .LBB14_879
.LBB14_875:
	s_mov_b64 s[20:21], -1
                                        ; implicit-def: $vgpr4
.LBB14_876:
	s_andn2_b64 vcc, exec, s[20:21]
	s_cbranch_vccnz .LBB14_878
; %bb.877:
	global_load_dword v4, v[0:1], off
.LBB14_878:
	s_mov_b64 s[20:21], 0
.LBB14_879:
	s_andn2_b64 vcc, exec, s[20:21]
	s_cbranch_vccnz .LBB14_881
; %bb.880:
	global_load_dword v2, v[0:1], off
	s_waitcnt vmcnt(0)
	v_cvt_f32_f16_e32 v4, v2
.LBB14_881:
	s_cbranch_execnz .LBB14_892
.LBB14_882:
	s_sext_i32_i16 s20, s15
	s_cmp_lt_i32 s20, 6
	s_cbranch_scc1 .LBB14_885
; %bb.883:
	s_cmp_gt_i32 s20, 6
	s_cbranch_scc0 .LBB14_886
; %bb.884:
	global_load_dwordx2 v[2:3], v[0:1], off
	s_mov_b64 s[20:21], 0
	s_waitcnt vmcnt(0)
	v_cvt_f32_f64_e32 v4, v[2:3]
	s_branch .LBB14_887
.LBB14_885:
	s_mov_b64 s[20:21], -1
                                        ; implicit-def: $vgpr4
	s_branch .LBB14_890
.LBB14_886:
	s_mov_b64 s[20:21], -1
                                        ; implicit-def: $vgpr4
.LBB14_887:
	s_andn2_b64 vcc, exec, s[20:21]
	s_cbranch_vccnz .LBB14_889
; %bb.888:
	global_load_dword v4, v[0:1], off
.LBB14_889:
	s_mov_b64 s[20:21], 0
.LBB14_890:
	s_andn2_b64 vcc, exec, s[20:21]
	s_cbranch_vccnz .LBB14_892
; %bb.891:
	global_load_ushort v2, v[0:1], off
	s_waitcnt vmcnt(0)
	v_cvt_f32_f16_e32 v4, v2
.LBB14_892:
	s_cbranch_execnz .LBB14_911
.LBB14_893:
	s_sext_i32_i16 s20, s15
	s_cmp_lt_i32 s20, 2
	s_cbranch_scc1 .LBB14_897
; %bb.894:
	s_cmp_lt_i32 s20, 3
	s_cbranch_scc1 .LBB14_898
; %bb.895:
	s_cmp_gt_i32 s20, 3
	s_cbranch_scc0 .LBB14_899
; %bb.896:
	global_load_dwordx2 v[2:3], v[0:1], off
	s_mov_b64 s[20:21], 0
	s_waitcnt vmcnt(0)
	v_xor_b32_e32 v5, v2, v3
	v_ffbh_i32_e32 v4, v3
	v_ashrrev_i32_e32 v5, 31, v5
	v_add_u32_e32 v4, -1, v4
	v_add_u32_e32 v5, 32, v5
	v_min_u32_e32 v4, v4, v5
	v_lshlrev_b64 v[2:3], v4, v[2:3]
	v_min_u32_e32 v2, 1, v2
	v_or_b32_e32 v2, v3, v2
	v_cvt_f32_i32_e32 v2, v2
	v_sub_u32_e32 v3, 32, v4
	v_ldexp_f32 v4, v2, v3
	s_branch .LBB14_900
.LBB14_897:
                                        ; implicit-def: $vgpr4
	s_branch .LBB14_906
.LBB14_898:
	s_mov_b64 s[20:21], -1
                                        ; implicit-def: $vgpr4
	s_branch .LBB14_903
.LBB14_899:
	s_mov_b64 s[20:21], -1
                                        ; implicit-def: $vgpr4
.LBB14_900:
	s_andn2_b64 vcc, exec, s[20:21]
	s_cbranch_vccnz .LBB14_902
; %bb.901:
	global_load_dword v2, v[0:1], off
	s_waitcnt vmcnt(0)
	v_cvt_f32_i32_e32 v4, v2
.LBB14_902:
	s_mov_b64 s[20:21], 0
.LBB14_903:
	s_andn2_b64 vcc, exec, s[20:21]
	s_cbranch_vccnz .LBB14_905
; %bb.904:
	global_load_sshort v2, v[0:1], off
	s_waitcnt vmcnt(0)
	v_cvt_f32_i32_e32 v4, v2
.LBB14_905:
	s_cbranch_execnz .LBB14_911
.LBB14_906:
	s_sext_i32_i16 s20, s15
	s_cmp_gt_i32 s20, 0
	s_cbranch_scc0 .LBB14_908
; %bb.907:
	global_load_sbyte v2, v[0:1], off
	s_mov_b64 s[20:21], 0
	s_waitcnt vmcnt(0)
	v_cvt_f32_i32_e32 v4, v2
	s_branch .LBB14_909
.LBB14_908:
	s_mov_b64 s[20:21], -1
                                        ; implicit-def: $vgpr4
.LBB14_909:
	s_andn2_b64 vcc, exec, s[20:21]
	s_cbranch_vccnz .LBB14_911
; %bb.910:
	global_load_ubyte v0, v[0:1], off
	s_waitcnt vmcnt(0)
	v_cvt_f32_ubyte0_e32 v4, v0
.LBB14_911:
	s_or_b64 s[0:1], s[0:1], exec
.LBB14_912:
	s_or_b64 exec, exec, s[16:17]
	s_mov_b64 s[22:23], 0
	s_mov_b64 s[20:21], 0
                                        ; implicit-def: $sgpr28
                                        ; implicit-def: $vgpr2_vgpr3
                                        ; implicit-def: $vgpr0
	s_and_saveexec_b64 s[16:17], s[0:1]
	s_cbranch_execz .LBB14_932
; %bb.913:
	s_waitcnt vmcnt(0)
	v_cmp_lt_f32_e32 vcc, s14, v4
	v_mov_b32_e32 v0, 1.0
	s_and_saveexec_b64 s[0:1], vcc
	s_cbranch_execz .LBB14_915
; %bb.914:
	v_add_f32_e32 v0, 0x33d6bf95, v4
	v_div_scale_f32 v1, s[20:21], v0, v0, s14
	v_div_scale_f32 v2, vcc, s14, v0, s14
	v_rcp_f32_e32 v3, v1
	v_fma_f32 v4, -v1, v3, 1.0
	v_fmac_f32_e32 v3, v4, v3
	v_mul_f32_e32 v4, v2, v3
	v_fma_f32 v5, -v1, v4, v2
	v_fmac_f32_e32 v4, v5, v3
	v_fma_f32 v1, -v1, v4, v2
	v_div_fmas_f32 v1, v1, v3, v4
	v_div_fixup_f32 v0, v1, v0, s14
.LBB14_915:
	s_or_b64 exec, exec, s[0:1]
	v_mul_lo_u32 v1, v8, s12
	v_mov_b32_e32 v3, s9
	s_and_b32 s28, s33, 0xff
	s_cmp_lt_i32 s28, 11
	v_ashrrev_i32_e32 v4, 31, v1
	v_add_co_u32_e32 v2, vcc, s8, v1
	v_addc_co_u32_e32 v3, vcc, v3, v4, vcc
	s_cbranch_scc1 .LBB14_935
; %bb.916:
	s_and_b32 s29, 0xffff, s28
	s_mov_b64 s[22:23], -1
	s_cmp_gt_i32 s29, 25
	s_mov_b64 s[0:1], s[6:7]
	s_cbranch_scc0 .LBB14_953
; %bb.917:
	s_mov_b64 s[20:21], -1
	s_cmp_gt_i32 s29, 28
	s_mov_b64 s[0:1], s[6:7]
	s_cbranch_scc0 .LBB14_937
; %bb.918:
	s_cmp_gt_i32 s29, 43
	s_mov_b64 s[0:1], s[6:7]
	s_cbranch_scc0 .LBB14_929
; %bb.919:
	;; [unrolled: 4-line block ×3, first 2 shown]
	s_cmp_eq_u32 s29, 46
	s_mov_b64 s[0:1], -1
	s_cbranch_scc0 .LBB14_922
; %bb.921:
	v_bfe_u32 v1, v0, 16, 1
	s_movk_i32 s0, 0x7fff
	v_add3_u32 v1, v0, v1, s0
	v_cmp_o_f32_e32 vcc, v0, v0
	v_mov_b32_e32 v4, 0x7fc0
	v_cndmask_b32_sdwa v1, v4, v1, vcc dst_sel:DWORD dst_unused:UNUSED_PAD src0_sel:DWORD src1_sel:WORD_1
	global_store_dword v[2:3], v1, off
	s_mov_b64 s[0:1], 0
.LBB14_922:
	s_mov_b64 s[20:21], 0
.LBB14_923:
	s_and_b64 vcc, exec, s[20:21]
	s_cbranch_vccz .LBB14_928
; %bb.924:
	s_cmp_eq_u32 s29, 44
	s_mov_b64 s[0:1], -1
	s_cbranch_scc0 .LBB14_928
; %bb.925:
	v_bfe_u32 v1, v0, 23, 8
	s_movk_i32 s0, 0xff
	v_cmp_ne_u32_e32 vcc, s0, v1
	v_mov_b32_e32 v4, 0xff
	s_and_saveexec_b64 s[20:21], vcc
; %bb.926:
	s_mov_b32 s0, 0x3fffff
	v_and_b32_e32 v5, 0x400000, v0
	v_and_or_b32 v1, v0, s0, v1
	v_cmp_ne_u32_e32 vcc, 0, v5
	v_cmp_ne_u32_e64 s[0:1], 0, v1
	s_and_b64 s[0:1], vcc, s[0:1]
	v_lshrrev_b32_e32 v4, 23, v0
	v_cndmask_b32_e64 v1, 0, 1, s[0:1]
	v_add_u32_e32 v4, v4, v1
; %bb.927:
	s_or_b64 exec, exec, s[20:21]
	s_mov_b64 s[0:1], 0
	global_store_byte v[2:3], v4, off
.LBB14_928:
	s_mov_b64 s[20:21], 0
.LBB14_929:
	s_and_b64 vcc, exec, s[20:21]
	s_cbranch_vccz .LBB14_936
; %bb.930:
	s_cmp_eq_u32 s29, 29
	s_mov_b64 s[0:1], -1
	s_cbranch_scc0 .LBB14_936
; %bb.931:
	v_trunc_f32_e32 v1, v0
	v_mul_f32_e32 v4, 0x2f800000, v1
	v_floor_f32_e32 v4, v4
	v_fmac_f32_e32 v1, 0xcf800000, v4
	v_cvt_u32_f32_e32 v5, v4
	v_cvt_u32_f32_e32 v4, v1
	s_mov_b64 s[0:1], 0
	s_mov_b64 s[20:21], 0
	global_store_dwordx2 v[2:3], v[4:5], off
	s_branch .LBB14_937
.LBB14_932:
	s_or_b64 exec, exec, s[16:17]
	s_and_saveexec_b64 s[0:1], s[6:7]
	s_cbranch_execnz .LBB14_995
.LBB14_933:
	s_or_b64 exec, exec, s[0:1]
	s_and_saveexec_b64 s[0:1], s[22:23]
	s_xor_b64 s[0:1], exec, s[0:1]
	s_cbranch_execz .LBB14_996
.LBB14_934:
	v_cmp_neq_f32_e32 vcc, 0, v0
	v_cndmask_b32_e64 v1, 0, 1, vcc
	s_waitcnt vmcnt(0)
	global_store_byte v[2:3], v1, off
	s_or_b64 exec, exec, s[0:1]
	s_and_saveexec_b64 s[0:1], s[20:21]
	s_xor_b64 s[0:1], exec, s[0:1]
	s_cbranch_execz .LBB14_1034
	s_branch .LBB14_997
.LBB14_935:
	s_mov_b64 s[20:21], -1
	s_mov_b64 s[0:1], s[6:7]
	s_branch .LBB14_994
.LBB14_936:
	s_mov_b64 s[20:21], 0
.LBB14_937:
	s_and_b64 vcc, exec, s[20:21]
	s_cbranch_vccz .LBB14_952
; %bb.938:
	s_cmp_lt_i32 s29, 27
	s_mov_b64 s[20:21], -1
	s_cbranch_scc1 .LBB14_944
; %bb.939:
	v_cvt_u32_f32_e32 v1, v0
	s_cmp_gt_i32 s29, 27
	s_cbranch_scc0 .LBB14_941
; %bb.940:
	s_mov_b64 s[20:21], 0
	global_store_dword v[2:3], v1, off
.LBB14_941:
	s_andn2_b64 vcc, exec, s[20:21]
	s_cbranch_vccnz .LBB14_943
; %bb.942:
	global_store_short v[2:3], v1, off
.LBB14_943:
	s_mov_b64 s[20:21], 0
.LBB14_944:
	s_andn2_b64 vcc, exec, s[20:21]
	s_cbranch_vccnz .LBB14_952
; %bb.945:
	v_and_b32_e32 v1, 0x7fffffff, v0
	s_mov_b32 s20, 0x43800000
	v_cmp_gt_u32_e32 vcc, s20, v1
	v_mov_b32_e32 v4, 0x80
	s_and_saveexec_b64 s[20:21], vcc
	s_cbranch_execz .LBB14_951
; %bb.946:
	s_mov_b32 s22, 0x3bffffff
	v_cmp_lt_u32_e32 vcc, s22, v1
	s_mov_b64 s[22:23], 0
                                        ; implicit-def: $vgpr1
	s_and_saveexec_b64 s[24:25], vcc
	s_xor_b64 s[24:25], exec, s[24:25]
	s_cbranch_execz .LBB14_1049
; %bb.947:
	v_bfe_u32 v1, v0, 20, 1
	s_mov_b32 s26, 0x487ffff
	v_add3_u32 v1, v0, v1, s26
	s_mov_b64 s[22:23], exec
	v_lshrrev_b32_e32 v1, 20, v1
	s_andn2_saveexec_b64 s[24:25], s[24:25]
	s_cbranch_execnz .LBB14_1050
.LBB14_948:
	s_or_b64 exec, exec, s[24:25]
	v_mov_b32_e32 v4, 0
	s_and_saveexec_b64 s[24:25], s[22:23]
.LBB14_949:
	v_lshrrev_b32_e32 v4, 24, v0
	s_movk_i32 s22, 0x80
	v_and_or_b32 v4, v4, s22, v1
.LBB14_950:
	s_or_b64 exec, exec, s[24:25]
.LBB14_951:
	s_or_b64 exec, exec, s[20:21]
	global_store_byte v[2:3], v4, off
.LBB14_952:
	s_mov_b64 s[22:23], 0
.LBB14_953:
	s_mov_b64 s[20:21], 0
	s_and_b64 vcc, exec, s[22:23]
	s_cbranch_vccz .LBB14_993
; %bb.954:
	s_cmp_gt_i32 s29, 22
	s_mov_b64 s[22:23], -1
	s_cbranch_scc0 .LBB14_986
; %bb.955:
	s_cmp_lt_i32 s29, 24
	s_cbranch_scc1 .LBB14_975
; %bb.956:
	s_cmp_gt_i32 s29, 24
	s_cbranch_scc0 .LBB14_964
; %bb.957:
	v_and_b32_e32 v1, 0x7fffffff, v0
	s_mov_b32 s22, 0x47800000
	v_cmp_gt_u32_e32 vcc, s22, v1
	v_mov_b32_e32 v4, 0x80
	s_and_saveexec_b64 s[22:23], vcc
	s_cbranch_execz .LBB14_963
; %bb.958:
	s_mov_b32 s24, 0x37ffffff
	v_cmp_lt_u32_e32 vcc, s24, v1
	s_mov_b64 s[24:25], 0
                                        ; implicit-def: $vgpr1
	s_and_saveexec_b64 s[26:27], vcc
	s_xor_b64 s[26:27], exec, s[26:27]
	s_cbranch_execz .LBB14_1176
; %bb.959:
	v_bfe_u32 v1, v0, 21, 1
	s_mov_b32 s30, 0x88fffff
	v_add3_u32 v1, v0, v1, s30
	s_mov_b64 s[24:25], exec
	v_lshrrev_b32_e32 v1, 21, v1
	s_andn2_saveexec_b64 s[26:27], s[26:27]
	s_cbranch_execnz .LBB14_1177
.LBB14_960:
	s_or_b64 exec, exec, s[26:27]
	v_mov_b32_e32 v4, 0
	s_and_saveexec_b64 s[26:27], s[24:25]
.LBB14_961:
	v_lshrrev_b32_e32 v4, 24, v0
	s_movk_i32 s24, 0x80
	v_and_or_b32 v4, v4, s24, v1
.LBB14_962:
	s_or_b64 exec, exec, s[26:27]
.LBB14_963:
	s_or_b64 exec, exec, s[22:23]
	s_mov_b64 s[22:23], 0
	global_store_byte v[2:3], v4, off
.LBB14_964:
	s_and_b64 vcc, exec, s[22:23]
	s_cbranch_vccz .LBB14_974
; %bb.965:
	v_and_b32_e32 v4, 0x7fffffff, v0
	s_mov_b32 s22, 0x43f00000
	v_cmp_gt_u32_e32 vcc, s22, v4
                                        ; implicit-def: $vgpr1
	s_and_saveexec_b64 s[22:23], vcc
	s_xor_b64 s[22:23], exec, s[22:23]
	s_cbranch_execz .LBB14_971
; %bb.966:
	s_mov_b32 s24, 0x3c7fffff
	v_cmp_lt_u32_e32 vcc, s24, v4
                                        ; implicit-def: $vgpr1
	s_and_saveexec_b64 s[24:25], vcc
	s_xor_b64 s[24:25], exec, s[24:25]
; %bb.967:
	v_bfe_u32 v1, v0, 20, 1
	s_mov_b32 s26, 0x407ffff
	v_add3_u32 v1, v0, v1, s26
	v_lshrrev_b32_e32 v4, 20, v1
	v_and_b32_e32 v1, 0xff00000, v1
	s_mov_b32 s26, 0x7f00000
	v_mov_b32_e32 v5, 0x7e
	v_cmp_ne_u32_e32 vcc, s26, v1
	v_cndmask_b32_e32 v1, v5, v4, vcc
; %bb.968:
	s_andn2_saveexec_b64 s[24:25], s[24:25]
; %bb.969:
	s_mov_b32 s26, 0x46800000
	v_add_f32_e64 v1, |v0|, s26
; %bb.970:
	s_or_b64 exec, exec, s[24:25]
                                        ; implicit-def: $vgpr4
.LBB14_971:
	s_andn2_saveexec_b64 s[22:23], s[22:23]
; %bb.972:
	s_mov_b32 s24, 0x7f800000
	v_mov_b32_e32 v1, 0x7e
	v_mov_b32_e32 v5, 0x7f
	v_cmp_lt_u32_e32 vcc, s24, v4
	v_cndmask_b32_e32 v1, v1, v5, vcc
; %bb.973:
	s_or_b64 exec, exec, s[22:23]
	v_lshrrev_b32_e32 v4, 24, v0
	s_movk_i32 s22, 0x80
	v_and_or_b32 v1, v4, s22, v1
	global_store_byte v[2:3], v1, off
.LBB14_974:
	s_mov_b64 s[22:23], 0
.LBB14_975:
	s_andn2_b64 vcc, exec, s[22:23]
	s_cbranch_vccnz .LBB14_985
; %bb.976:
	v_and_b32_e32 v4, 0x7fffffff, v0
	s_mov_b32 s22, 0x47800000
	v_cmp_gt_u32_e32 vcc, s22, v4
                                        ; implicit-def: $vgpr1
	s_and_saveexec_b64 s[22:23], vcc
	s_xor_b64 s[22:23], exec, s[22:23]
	s_cbranch_execz .LBB14_982
; %bb.977:
	s_mov_b32 s24, 0x387fffff
	v_cmp_lt_u32_e32 vcc, s24, v4
                                        ; implicit-def: $vgpr1
	s_and_saveexec_b64 s[24:25], vcc
	s_xor_b64 s[24:25], exec, s[24:25]
; %bb.978:
	v_bfe_u32 v1, v0, 21, 1
	s_mov_b32 s26, 0x80fffff
	v_add3_u32 v1, v0, v1, s26
	v_lshrrev_b32_e32 v1, 21, v1
; %bb.979:
	s_andn2_saveexec_b64 s[24:25], s[24:25]
; %bb.980:
	s_mov_b32 s26, 0x43000000
	v_add_f32_e64 v1, |v0|, s26
; %bb.981:
	s_or_b64 exec, exec, s[24:25]
                                        ; implicit-def: $vgpr4
.LBB14_982:
	s_andn2_saveexec_b64 s[22:23], s[22:23]
; %bb.983:
	s_mov_b32 s24, 0x7f800000
	v_mov_b32_e32 v1, 0x7c
	v_mov_b32_e32 v5, 0x7f
	v_cmp_lt_u32_e32 vcc, s24, v4
	v_cndmask_b32_e32 v1, v1, v5, vcc
; %bb.984:
	s_or_b64 exec, exec, s[22:23]
	v_lshrrev_b32_e32 v4, 24, v0
	s_movk_i32 s22, 0x80
	v_and_or_b32 v1, v4, s22, v1
	global_store_byte v[2:3], v1, off
.LBB14_985:
	s_mov_b64 s[22:23], 0
.LBB14_986:
	s_andn2_b64 vcc, exec, s[22:23]
	s_mov_b64 s[22:23], 0
	s_cbranch_vccnz .LBB14_994
; %bb.987:
	s_cmp_gt_i32 s29, 14
	s_mov_b64 s[24:25], -1
	s_cbranch_scc0 .LBB14_991
; %bb.988:
	s_cmp_eq_u32 s29, 15
	s_mov_b64 s[0:1], -1
	s_cbranch_scc0 .LBB14_990
; %bb.989:
	v_bfe_u32 v1, v0, 16, 1
	s_movk_i32 s0, 0x7fff
	v_add3_u32 v1, v0, v1, s0
	v_cmp_o_f32_e32 vcc, v0, v0
	v_mov_b32_e32 v4, 0x7fc0
	v_cndmask_b32_sdwa v1, v4, v1, vcc dst_sel:DWORD dst_unused:UNUSED_PAD src0_sel:DWORD src1_sel:WORD_1
	global_store_short v[2:3], v1, off
	s_mov_b64 s[0:1], 0
.LBB14_990:
	s_mov_b64 s[24:25], 0
.LBB14_991:
	s_and_b64 vcc, exec, s[24:25]
	s_cbranch_vccz .LBB14_994
; %bb.992:
	s_cmp_lg_u32 s29, 11
	s_cselect_b64 s[24:25], -1, 0
	s_andn2_b64 s[0:1], s[0:1], exec
	s_and_b64 s[24:25], s[24:25], exec
	s_mov_b64 s[22:23], -1
	s_or_b64 s[0:1], s[0:1], s[24:25]
	s_branch .LBB14_994
.LBB14_993:
	s_mov_b64 s[22:23], 0
.LBB14_994:
	s_andn2_b64 s[6:7], s[6:7], exec
	s_and_b64 s[0:1], s[0:1], exec
	s_and_b64 s[20:21], s[20:21], exec
	;; [unrolled: 1-line block ×3, first 2 shown]
	s_or_b64 s[6:7], s[6:7], s[0:1]
	s_or_b64 exec, exec, s[16:17]
	s_and_saveexec_b64 s[0:1], s[6:7]
	s_cbranch_execz .LBB14_933
.LBB14_995:
	s_or_b64 s[18:19], s[18:19], exec
	s_andn2_b64 s[22:23], s[22:23], exec
	s_trap 2
	s_or_b64 exec, exec, s[0:1]
	s_and_saveexec_b64 s[0:1], s[22:23]
	s_xor_b64 s[0:1], exec, s[0:1]
	s_cbranch_execnz .LBB14_934
.LBB14_996:
	s_or_b64 exec, exec, s[0:1]
	s_and_saveexec_b64 s[0:1], s[20:21]
	s_xor_b64 s[0:1], exec, s[0:1]
	s_cbranch_execz .LBB14_1034
.LBB14_997:
	s_sext_i32_i16 s16, s28
	s_cmp_lt_i32 s16, 5
	s_mov_b64 s[6:7], -1
	s_cbranch_scc1 .LBB14_1018
; %bb.998:
	s_cmp_lt_i32 s16, 8
	s_cbranch_scc1 .LBB14_1008
; %bb.999:
	s_cmp_lt_i32 s16, 9
	s_cbranch_scc1 .LBB14_1005
; %bb.1000:
	s_cmp_gt_i32 s16, 9
	s_cbranch_scc0 .LBB14_1002
; %bb.1001:
	s_waitcnt vmcnt(0)
	v_cvt_f64_f32_e32 v[4:5], v0
	v_mov_b32_e32 v6, 0
	v_mov_b32_e32 v7, v6
	s_mov_b64 s[6:7], 0
	global_store_dwordx4 v[2:3], v[4:7], off
.LBB14_1002:
	s_andn2_b64 vcc, exec, s[6:7]
	s_cbranch_vccnz .LBB14_1004
; %bb.1003:
	v_mov_b32_e32 v1, 0
	s_waitcnt vmcnt(0)
	global_store_dwordx2 v[2:3], v[0:1], off
.LBB14_1004:
	s_mov_b64 s[6:7], 0
.LBB14_1005:
	s_andn2_b64 vcc, exec, s[6:7]
	s_cbranch_vccnz .LBB14_1007
; %bb.1006:
	v_cvt_f16_f32_e32 v1, v0
	s_waitcnt vmcnt(0)
	global_store_dword v[2:3], v1, off
.LBB14_1007:
	s_mov_b64 s[6:7], 0
.LBB14_1008:
	s_andn2_b64 vcc, exec, s[6:7]
	s_cbranch_vccnz .LBB14_1017
; %bb.1009:
	s_sext_i32_i16 s16, s28
	s_cmp_lt_i32 s16, 6
	s_mov_b64 s[6:7], -1
	s_cbranch_scc1 .LBB14_1015
; %bb.1010:
	s_cmp_gt_i32 s16, 6
	s_cbranch_scc0 .LBB14_1012
; %bb.1011:
	s_waitcnt vmcnt(0)
	v_cvt_f64_f32_e32 v[4:5], v0
	s_mov_b64 s[6:7], 0
	global_store_dwordx2 v[2:3], v[4:5], off
.LBB14_1012:
	s_andn2_b64 vcc, exec, s[6:7]
	s_cbranch_vccnz .LBB14_1014
; %bb.1013:
	s_waitcnt vmcnt(0)
	global_store_dword v[2:3], v0, off
.LBB14_1014:
	s_mov_b64 s[6:7], 0
.LBB14_1015:
	s_andn2_b64 vcc, exec, s[6:7]
	s_cbranch_vccnz .LBB14_1017
; %bb.1016:
	v_cvt_f16_f32_e32 v1, v0
	s_waitcnt vmcnt(0)
	global_store_short v[2:3], v1, off
.LBB14_1017:
	s_mov_b64 s[6:7], 0
.LBB14_1018:
	s_andn2_b64 vcc, exec, s[6:7]
	s_cbranch_vccnz .LBB14_1034
; %bb.1019:
	s_sext_i32_i16 s16, s28
	s_cmp_lt_i32 s16, 2
	s_mov_b64 s[6:7], -1
	s_cbranch_scc1 .LBB14_1029
; %bb.1020:
	s_cmp_lt_i32 s16, 3
	s_cbranch_scc1 .LBB14_1026
; %bb.1021:
	s_cmp_gt_i32 s16, 3
	s_cbranch_scc0 .LBB14_1023
; %bb.1022:
	v_trunc_f32_e32 v1, v0
	s_mov_b32 s6, 0x2f800000
	s_waitcnt vmcnt(0)
	v_mul_f32_e64 v4, |v1|, s6
	v_floor_f32_e32 v4, v4
	s_mov_b32 s6, 0xcf800000
	v_cvt_u32_f32_e32 v5, v4
	v_fma_f32 v4, v4, s6, |v1|
	v_cvt_u32_f32_e32 v4, v4
	v_ashrrev_i32_e32 v1, 31, v1
	v_xor_b32_e32 v5, v5, v1
	s_mov_b64 s[6:7], 0
	v_xor_b32_e32 v4, v4, v1
	v_sub_co_u32_e32 v4, vcc, v4, v1
	v_subb_co_u32_e32 v5, vcc, v5, v1, vcc
	global_store_dwordx2 v[2:3], v[4:5], off
.LBB14_1023:
	s_andn2_b64 vcc, exec, s[6:7]
	s_cbranch_vccnz .LBB14_1025
; %bb.1024:
	v_cvt_i32_f32_e32 v1, v0
	s_waitcnt vmcnt(0)
	global_store_dword v[2:3], v1, off
.LBB14_1025:
	s_mov_b64 s[6:7], 0
.LBB14_1026:
	s_andn2_b64 vcc, exec, s[6:7]
	s_cbranch_vccnz .LBB14_1028
; %bb.1027:
	v_cvt_i32_f32_e32 v1, v0
	s_waitcnt vmcnt(0)
	global_store_short v[2:3], v1, off
.LBB14_1028:
	s_mov_b64 s[6:7], 0
.LBB14_1029:
	s_andn2_b64 vcc, exec, s[6:7]
	s_cbranch_vccnz .LBB14_1034
; %bb.1030:
	s_sext_i32_i16 s6, s28
	s_cmp_gt_i32 s6, 0
	s_mov_b64 s[6:7], -1
	s_cbranch_scc0 .LBB14_1032
; %bb.1031:
	v_cvt_i32_f32_e32 v1, v0
	s_mov_b64 s[6:7], 0
	s_waitcnt vmcnt(0)
	global_store_byte v[2:3], v1, off
.LBB14_1032:
	s_andn2_b64 vcc, exec, s[6:7]
	s_cbranch_vccnz .LBB14_1034
; %bb.1033:
	v_trunc_f32_e32 v0, v0
	s_mov_b32 s6, 0x2f800000
	v_mul_f32_e64 v1, |v0|, s6
	v_floor_f32_e32 v1, v1
	s_mov_b32 s6, 0xcf800000
	v_fma_f32 v1, v1, s6, |v0|
	v_cvt_u32_f32_e32 v1, v1
	v_ashrrev_i32_e32 v0, 31, v0
	v_xor_b32_e32 v1, v1, v0
	v_sub_u32_e32 v0, v1, v0
	s_waitcnt vmcnt(0)
	global_store_byte v[2:3], v0, off
.LBB14_1034:
	s_or_b64 exec, exec, s[0:1]
	s_and_b64 s[6:7], s[18:19], exec
                                        ; implicit-def: $vgpr8
.LBB14_1035:
	s_or_saveexec_b64 s[4:5], s[4:5]
	s_mov_b64 s[0:1], 0
                                        ; implicit-def: $sgpr20
                                        ; implicit-def: $vgpr2_vgpr3
                                        ; implicit-def: $vgpr0
	s_xor_b64 exec, exec, s[4:5]
	s_cbranch_execz .LBB14_1637
; %bb.1036:
	s_waitcnt vmcnt(0)
	v_mul_lo_u32 v2, s13, v8
	v_mov_b32_e32 v1, s11
	s_and_b32 s15, 0xffff, s15
	s_cmp_lt_i32 s15, 11
	v_ashrrev_i32_e32 v3, 31, v2
	v_add_co_u32_e32 v0, vcc, s10, v2
	v_addc_co_u32_e32 v1, vcc, v1, v3, vcc
	s_cbranch_scc1 .LBB14_1043
; %bb.1037:
	s_cmp_gt_i32 s15, 25
	s_cbranch_scc0 .LBB14_1045
; %bb.1038:
	s_cmp_gt_i32 s15, 28
	s_cbranch_scc0 .LBB14_1046
	;; [unrolled: 3-line block ×4, first 2 shown]
; %bb.1041:
	s_cmp_eq_u32 s15, 46
	s_mov_b64 s[16:17], 0
	s_cbranch_scc0 .LBB14_1051
; %bb.1042:
	global_load_dword v3, v[0:1], off
	s_mov_b64 s[18:19], -1
	s_waitcnt vmcnt(0)
	v_lshlrev_b32_e32 v3, 16, v3
	s_branch .LBB14_1052
.LBB14_1043:
	s_mov_b64 s[18:19], 0
                                        ; implicit-def: $vgpr3
	s_mov_b64 s[16:17], s[6:7]
	s_cbranch_execnz .LBB14_1115
.LBB14_1044:
	s_andn2_b64 vcc, exec, s[18:19]
	s_cbranch_vccz .LBB14_1160
	s_branch .LBB14_1634
.LBB14_1045:
	s_mov_b64 s[18:19], 0
                                        ; implicit-def: $vgpr3
	s_cbranch_execnz .LBB14_1080
	s_branch .LBB14_1111
.LBB14_1046:
	s_mov_b64 s[16:17], -1
	s_mov_b64 s[18:19], 0
                                        ; implicit-def: $vgpr3
	s_branch .LBB14_1061
.LBB14_1047:
	s_mov_b64 s[18:19], 0
                                        ; implicit-def: $vgpr3
	s_cbranch_execnz .LBB14_1057
	s_branch .LBB14_1060
.LBB14_1048:
	s_mov_b64 s[16:17], -1
	s_mov_b64 s[18:19], 0
                                        ; implicit-def: $vgpr3
	s_branch .LBB14_1052
.LBB14_1049:
	s_andn2_saveexec_b64 s[24:25], s[24:25]
	s_cbranch_execz .LBB14_948
.LBB14_1050:
	s_mov_b32 s26, 0x46000000
	v_add_f32_e64 v1, |v0|, s26
	v_and_b32_e32 v1, 0xff, v1
	v_cmp_ne_u32_e32 vcc, 0, v1
	s_andn2_b64 s[22:23], s[22:23], exec
	s_and_b64 s[26:27], vcc, exec
	s_or_b64 s[22:23], s[22:23], s[26:27]
	s_or_b64 exec, exec, s[24:25]
	v_mov_b32_e32 v4, 0
	s_and_saveexec_b64 s[24:25], s[22:23]
	s_cbranch_execnz .LBB14_949
	s_branch .LBB14_950
.LBB14_1051:
	s_mov_b64 s[0:1], -1
                                        ; implicit-def: $vgpr3
	s_mov_b64 s[18:19], 0
.LBB14_1052:
	s_and_b64 vcc, exec, s[16:17]
	s_cbranch_vccz .LBB14_1055
; %bb.1053:
	s_cmp_eq_u32 s15, 44
	s_cbranch_scc0 .LBB14_1056
; %bb.1054:
	global_load_ubyte v3, v[0:1], off
	s_movk_i32 s16, 0xff
	v_mov_b32_e32 v4, 0x7f800001
	v_mov_b32_e32 v5, 0x400000
	s_mov_b64 s[0:1], 0
	s_mov_b64 s[18:19], -1
	s_waitcnt vmcnt(0)
	v_lshlrev_b32_e32 v6, 23, v3
	v_cmp_ne_u32_e32 vcc, s16, v3
	v_cndmask_b32_e32 v4, v4, v6, vcc
	v_cmp_ne_u32_e32 vcc, 0, v3
	v_cndmask_b32_e32 v3, v5, v4, vcc
.LBB14_1055:
	s_branch .LBB14_1060
.LBB14_1056:
	s_mov_b64 s[0:1], -1
                                        ; implicit-def: $vgpr3
	s_branch .LBB14_1060
.LBB14_1057:
	s_cmp_eq_u32 s15, 29
	s_cbranch_scc0 .LBB14_1059
; %bb.1058:
	global_load_dwordx2 v[3:4], v[0:1], off
	s_mov_b64 s[0:1], 0
	s_mov_b64 s[18:19], -1
	s_mov_b64 s[16:17], 0
	s_waitcnt vmcnt(0)
	v_ffbh_u32_e32 v5, v4
	v_min_u32_e32 v5, 32, v5
	v_lshlrev_b64 v[3:4], v5, v[3:4]
	v_min_u32_e32 v3, 1, v3
	v_or_b32_e32 v3, v4, v3
	v_cvt_f32_u32_e32 v3, v3
	v_sub_u32_e32 v4, 32, v5
	v_ldexp_f32 v3, v3, v4
	s_branch .LBB14_1061
.LBB14_1059:
	s_mov_b64 s[0:1], -1
                                        ; implicit-def: $vgpr3
.LBB14_1060:
	s_mov_b64 s[16:17], 0
.LBB14_1061:
	s_and_b64 vcc, exec, s[16:17]
	s_cbranch_vccz .LBB14_1079
; %bb.1062:
	s_cmp_lt_i32 s15, 27
	s_cbranch_scc1 .LBB14_1065
; %bb.1063:
	s_cmp_gt_i32 s15, 27
	s_cbranch_scc0 .LBB14_1066
; %bb.1064:
	global_load_dword v3, v[0:1], off
	s_mov_b64 s[16:17], 0
	s_waitcnt vmcnt(0)
	v_cvt_f32_u32_e32 v3, v3
	s_branch .LBB14_1067
.LBB14_1065:
	s_mov_b64 s[16:17], -1
                                        ; implicit-def: $vgpr3
	s_branch .LBB14_1070
.LBB14_1066:
	s_mov_b64 s[16:17], -1
                                        ; implicit-def: $vgpr3
.LBB14_1067:
	s_andn2_b64 vcc, exec, s[16:17]
	s_cbranch_vccnz .LBB14_1069
; %bb.1068:
	global_load_ushort v3, v[0:1], off
	s_waitcnt vmcnt(0)
	v_cvt_f32_u32_e32 v3, v3
.LBB14_1069:
	s_mov_b64 s[16:17], 0
.LBB14_1070:
	s_andn2_b64 vcc, exec, s[16:17]
	s_cbranch_vccnz .LBB14_1078
; %bb.1071:
	global_load_ubyte v4, v[0:1], off
	s_movk_i32 s16, 0x7f
	s_waitcnt vmcnt(0)
	v_cmp_lt_i16_e32 vcc, s16, v4
	s_mov_b64 s[16:17], 0
	s_and_saveexec_b64 s[18:19], vcc
	s_xor_b64 s[18:19], exec, s[18:19]
	s_cbranch_execz .LBB14_1091
; %bb.1072:
	s_movk_i32 s16, 0x80
	v_cmp_eq_u16_e32 vcc, s16, v4
	s_mov_b64 s[16:17], -1
	s_and_saveexec_b64 s[20:21], vcc
; %bb.1073:
	s_xor_b64 s[16:17], exec, -1
; %bb.1074:
	s_or_b64 exec, exec, s[20:21]
	s_and_b64 s[16:17], s[16:17], exec
	s_or_saveexec_b64 s[18:19], s[18:19]
	v_mov_b32_e32 v3, 0x7f800001
	s_xor_b64 exec, exec, s[18:19]
	s_cbranch_execnz .LBB14_1092
.LBB14_1075:
	s_or_b64 exec, exec, s[18:19]
	s_and_saveexec_b64 s[18:19], s[16:17]
	s_cbranch_execz .LBB14_1077
.LBB14_1076:
	v_lshlrev_b32_e32 v3, 24, v4
	v_and_b32_e32 v4, 0xffff, v4
	v_and_b32_e32 v5, 7, v4
	v_ffbh_u32_e32 v7, v5
	v_min_u32_e32 v7, 32, v7
	v_subrev_u32_e32 v9, 28, v7
	v_bfe_u32 v6, v4, 3, 4
	v_lshlrev_b32_e32 v4, v9, v4
	v_sub_u32_e32 v7, 29, v7
	v_and_b32_e32 v4, 7, v4
	v_cmp_eq_u32_e32 vcc, 0, v6
	v_cndmask_b32_e32 v6, v6, v7, vcc
	v_cndmask_b32_e32 v4, v5, v4, vcc
	v_mov_b32_e32 v5, 0x3b800000
	v_lshlrev_b32_e32 v4, 20, v4
	v_and_b32_e32 v3, 0x80000000, v3
	v_lshl_add_u32 v5, v6, 23, v5
	v_or3_b32 v3, v3, v5, v4
.LBB14_1077:
	s_or_b64 exec, exec, s[18:19]
.LBB14_1078:
	s_mov_b64 s[18:19], -1
.LBB14_1079:
	s_branch .LBB14_1111
.LBB14_1080:
	s_cmp_gt_i32 s15, 22
	s_cbranch_scc0 .LBB14_1090
; %bb.1081:
	s_cmp_lt_i32 s15, 24
	s_cbranch_scc1 .LBB14_1093
; %bb.1082:
	s_cmp_gt_i32 s15, 24
	s_cbranch_scc0 .LBB14_1094
; %bb.1083:
	global_load_ubyte v4, v[0:1], off
	s_movk_i32 s2, 0x7f
	s_waitcnt vmcnt(0)
	v_cmp_lt_i16_e32 vcc, s2, v4
	s_mov_b64 s[2:3], 0
	s_and_saveexec_b64 s[16:17], vcc
	s_xor_b64 s[16:17], exec, s[16:17]
	s_cbranch_execz .LBB14_1105
; %bb.1084:
	s_movk_i32 s2, 0x80
	v_cmp_eq_u16_e32 vcc, s2, v4
	s_mov_b64 s[2:3], -1
	s_and_saveexec_b64 s[18:19], vcc
; %bb.1085:
	s_xor_b64 s[2:3], exec, -1
; %bb.1086:
	s_or_b64 exec, exec, s[18:19]
	s_and_b64 s[2:3], s[2:3], exec
	s_or_saveexec_b64 s[16:17], s[16:17]
	v_mov_b32_e32 v3, 0x7f800001
	s_xor_b64 exec, exec, s[16:17]
	s_cbranch_execnz .LBB14_1106
.LBB14_1087:
	s_or_b64 exec, exec, s[16:17]
	s_and_saveexec_b64 s[16:17], s[2:3]
	s_cbranch_execz .LBB14_1089
.LBB14_1088:
	v_lshlrev_b32_e32 v3, 24, v4
	v_and_b32_e32 v4, 0xffff, v4
	v_and_b32_e32 v5, 3, v4
	v_ffbh_u32_e32 v7, v5
	v_min_u32_e32 v7, 32, v7
	v_subrev_u32_e32 v9, 29, v7
	v_bfe_u32 v6, v4, 2, 5
	v_lshlrev_b32_e32 v4, v9, v4
	v_sub_u32_e32 v7, 30, v7
	v_and_b32_e32 v4, 3, v4
	v_cmp_eq_u32_e32 vcc, 0, v6
	v_cndmask_b32_e32 v6, v6, v7, vcc
	v_cndmask_b32_e32 v4, v5, v4, vcc
	v_mov_b32_e32 v5, 0x37800000
	v_lshlrev_b32_e32 v4, 21, v4
	v_and_b32_e32 v3, 0x80000000, v3
	v_lshl_add_u32 v5, v6, 23, v5
	v_or3_b32 v3, v3, v5, v4
.LBB14_1089:
	s_or_b64 exec, exec, s[16:17]
	s_mov_b64 s[2:3], 0
	s_branch .LBB14_1095
.LBB14_1090:
                                        ; implicit-def: $vgpr3
	s_mov_b64 s[2:3], 0
	s_branch .LBB14_1101
.LBB14_1091:
	s_or_saveexec_b64 s[18:19], s[18:19]
	v_mov_b32_e32 v3, 0x7f800001
	s_xor_b64 exec, exec, s[18:19]
	s_cbranch_execz .LBB14_1075
.LBB14_1092:
	v_cmp_ne_u16_e32 vcc, 0, v4
	s_andn2_b64 s[16:17], s[16:17], exec
	s_and_b64 s[20:21], vcc, exec
	v_mov_b32_e32 v3, 0
	s_or_b64 s[16:17], s[16:17], s[20:21]
	s_or_b64 exec, exec, s[18:19]
	s_and_saveexec_b64 s[18:19], s[16:17]
	s_cbranch_execnz .LBB14_1076
	s_branch .LBB14_1077
.LBB14_1093:
	s_mov_b64 s[2:3], -1
                                        ; implicit-def: $vgpr3
	s_branch .LBB14_1098
.LBB14_1094:
	s_mov_b64 s[2:3], -1
                                        ; implicit-def: $vgpr3
.LBB14_1095:
	s_and_b64 vcc, exec, s[2:3]
	s_cbranch_vccz .LBB14_1097
; %bb.1096:
	global_load_ubyte v3, v[0:1], off
	s_mov_b32 s2, 0x7f800000
	s_waitcnt vmcnt(0)
	v_lshlrev_b32_e32 v3, 24, v3
	v_and_b32_e32 v4, 0x7f000000, v3
	v_ffbh_u32_e32 v5, v4
	v_min_u32_e32 v5, 32, v5
	v_sub_u32_e64 v5, v5, 4 clamp
	v_lshlrev_b32_e32 v7, v5, v4
	v_lshlrev_b32_e32 v5, 23, v5
	v_lshrrev_b32_e32 v7, 4, v7
	v_add_u32_e32 v6, 0x1000000, v4
	v_sub_u32_e32 v5, v7, v5
	v_ashrrev_i32_e32 v6, 8, v6
	v_add_u32_e32 v5, 0x3c000000, v5
	v_and_or_b32 v5, v6, s2, v5
	v_cmp_ne_u32_e32 vcc, 0, v4
	v_cndmask_b32_e32 v4, 0, v5, vcc
	s_brev_b32 s2, 1
	v_and_or_b32 v3, v3, s2, v4
.LBB14_1097:
	s_mov_b64 s[2:3], 0
.LBB14_1098:
	s_andn2_b64 vcc, exec, s[2:3]
	s_cbranch_vccnz .LBB14_1100
; %bb.1099:
	global_load_ubyte v3, v[0:1], off
	s_movk_i32 s2, 0x7f00
	s_brev_b32 s3, 16
	s_waitcnt vmcnt(0)
	v_lshlrev_b16_e32 v4, 8, v3
	v_lshlrev_b32_e32 v3, 25, v3
	v_lshrrev_b32_e32 v5, 4, v3
	v_and_or_b32 v6, v4, s2, 0.5
	v_or_b32_e32 v5, 0x70000000, v5
	v_add_f32_e32 v6, -0.5, v6
	v_mul_f32_e32 v5, 0x7800000, v5
	v_cmp_gt_u32_e32 vcc, s3, v3
	v_bfe_i32 v4, v4, 0, 16
	v_cndmask_b32_e32 v3, v5, v6, vcc
	s_brev_b32 s2, 1
	v_and_or_b32 v3, v4, s2, v3
.LBB14_1100:
	s_mov_b64 s[18:19], -1
	s_mov_b64 s[2:3], 0
	s_cbranch_execnz .LBB14_1111
.LBB14_1101:
	s_cmp_gt_i32 s15, 14
	s_cbranch_scc0 .LBB14_1104
; %bb.1102:
	s_cmp_eq_u32 s15, 15
	s_cbranch_scc0 .LBB14_1107
; %bb.1103:
	global_load_ushort v3, v[0:1], off
	s_mov_b64 s[0:1], 0
	s_mov_b64 s[18:19], -1
	s_waitcnt vmcnt(0)
	v_lshlrev_b32_e32 v3, 16, v3
	s_branch .LBB14_1108
.LBB14_1104:
	s_mov_b64 s[16:17], -1
                                        ; implicit-def: $vgpr3
	s_branch .LBB14_1109
.LBB14_1105:
	s_or_saveexec_b64 s[16:17], s[16:17]
	v_mov_b32_e32 v3, 0x7f800001
	s_xor_b64 exec, exec, s[16:17]
	s_cbranch_execz .LBB14_1087
.LBB14_1106:
	v_cmp_ne_u16_e32 vcc, 0, v4
	s_andn2_b64 s[2:3], s[2:3], exec
	s_and_b64 s[18:19], vcc, exec
	v_mov_b32_e32 v3, 0
	s_or_b64 s[2:3], s[2:3], s[18:19]
	s_or_b64 exec, exec, s[16:17]
	s_and_saveexec_b64 s[16:17], s[2:3]
	s_cbranch_execnz .LBB14_1088
	s_branch .LBB14_1089
.LBB14_1107:
	s_mov_b64 s[0:1], -1
                                        ; implicit-def: $vgpr3
.LBB14_1108:
	s_mov_b64 s[16:17], 0
.LBB14_1109:
	s_and_b64 vcc, exec, s[16:17]
	s_cbranch_vccz .LBB14_1111
; %bb.1110:
	s_cmp_lg_u32 s15, 11
	s_mov_b64 s[2:3], -1
	s_cselect_b64 s[0:1], -1, 0
.LBB14_1111:
	s_and_b64 vcc, exec, s[0:1]
	s_mov_b64 s[16:17], s[6:7]
	s_cbranch_vccnz .LBB14_1174
; %bb.1112:
	s_andn2_b64 vcc, exec, s[2:3]
	s_cbranch_vccnz .LBB14_1114
.LBB14_1113:
	global_load_ubyte v3, v[0:1], off
	s_mov_b64 s[18:19], -1
	s_waitcnt vmcnt(0)
	v_cmp_ne_u16_e32 vcc, 0, v3
	v_cndmask_b32_e64 v3, 0, 1.0, vcc
.LBB14_1114:
	s_branch .LBB14_1044
.LBB14_1115:
	s_cmp_lt_i32 s15, 5
	s_cbranch_scc1 .LBB14_1120
; %bb.1116:
	s_cmp_lt_i32 s15, 8
	s_cbranch_scc1 .LBB14_1121
; %bb.1117:
	s_cmp_lt_i32 s15, 9
	s_cbranch_scc1 .LBB14_1122
; %bb.1118:
	s_cmp_gt_i32 s15, 9
	s_cbranch_scc0 .LBB14_1123
; %bb.1119:
	global_load_dwordx2 v[3:4], v[0:1], off
	s_mov_b64 s[0:1], 0
	s_waitcnt vmcnt(0)
	v_cvt_f32_f64_e32 v3, v[3:4]
	s_branch .LBB14_1124
.LBB14_1120:
                                        ; implicit-def: $vgpr3
	s_branch .LBB14_1141
.LBB14_1121:
                                        ; implicit-def: $vgpr3
	s_branch .LBB14_1130
.LBB14_1122:
	s_mov_b64 s[0:1], -1
                                        ; implicit-def: $vgpr3
	s_branch .LBB14_1127
.LBB14_1123:
	s_mov_b64 s[0:1], -1
                                        ; implicit-def: $vgpr3
.LBB14_1124:
	s_andn2_b64 vcc, exec, s[0:1]
	s_cbranch_vccnz .LBB14_1126
; %bb.1125:
	global_load_dword v3, v[0:1], off
.LBB14_1126:
	s_mov_b64 s[0:1], 0
.LBB14_1127:
	s_andn2_b64 vcc, exec, s[0:1]
	s_cbranch_vccnz .LBB14_1129
; %bb.1128:
	global_load_dword v3, v[0:1], off
	s_waitcnt vmcnt(0)
	v_cvt_f32_f16_e32 v3, v3
.LBB14_1129:
	s_cbranch_execnz .LBB14_1140
.LBB14_1130:
	s_cmp_lt_i32 s15, 6
	s_cbranch_scc1 .LBB14_1133
; %bb.1131:
	s_cmp_gt_i32 s15, 6
	s_cbranch_scc0 .LBB14_1134
; %bb.1132:
	global_load_dwordx2 v[3:4], v[0:1], off
	s_mov_b64 s[0:1], 0
	s_waitcnt vmcnt(0)
	v_cvt_f32_f64_e32 v3, v[3:4]
	s_branch .LBB14_1135
.LBB14_1133:
	s_mov_b64 s[0:1], -1
                                        ; implicit-def: $vgpr3
	s_branch .LBB14_1138
.LBB14_1134:
	s_mov_b64 s[0:1], -1
                                        ; implicit-def: $vgpr3
.LBB14_1135:
	s_andn2_b64 vcc, exec, s[0:1]
	s_cbranch_vccnz .LBB14_1137
; %bb.1136:
	global_load_dword v3, v[0:1], off
.LBB14_1137:
	s_mov_b64 s[0:1], 0
.LBB14_1138:
	s_andn2_b64 vcc, exec, s[0:1]
	s_cbranch_vccnz .LBB14_1140
; %bb.1139:
	global_load_ushort v3, v[0:1], off
	s_waitcnt vmcnt(0)
	v_cvt_f32_f16_e32 v3, v3
.LBB14_1140:
	s_cbranch_execnz .LBB14_1159
.LBB14_1141:
	s_cmp_lt_i32 s15, 2
	s_cbranch_scc1 .LBB14_1145
; %bb.1142:
	s_cmp_lt_i32 s15, 3
	s_cbranch_scc1 .LBB14_1146
; %bb.1143:
	s_cmp_gt_i32 s15, 3
	s_cbranch_scc0 .LBB14_1147
; %bb.1144:
	global_load_dwordx2 v[3:4], v[0:1], off
	s_mov_b64 s[0:1], 0
	s_waitcnt vmcnt(0)
	v_xor_b32_e32 v6, v3, v4
	v_ffbh_i32_e32 v5, v4
	v_ashrrev_i32_e32 v6, 31, v6
	v_add_u32_e32 v5, -1, v5
	v_add_u32_e32 v6, 32, v6
	v_min_u32_e32 v5, v5, v6
	v_lshlrev_b64 v[3:4], v5, v[3:4]
	v_min_u32_e32 v3, 1, v3
	v_or_b32_e32 v3, v4, v3
	v_cvt_f32_i32_e32 v3, v3
	v_sub_u32_e32 v4, 32, v5
	v_ldexp_f32 v3, v3, v4
	s_branch .LBB14_1148
.LBB14_1145:
                                        ; implicit-def: $vgpr3
	s_branch .LBB14_1154
.LBB14_1146:
	s_mov_b64 s[0:1], -1
                                        ; implicit-def: $vgpr3
	s_branch .LBB14_1151
.LBB14_1147:
	s_mov_b64 s[0:1], -1
                                        ; implicit-def: $vgpr3
.LBB14_1148:
	s_andn2_b64 vcc, exec, s[0:1]
	s_cbranch_vccnz .LBB14_1150
; %bb.1149:
	global_load_dword v3, v[0:1], off
	s_waitcnt vmcnt(0)
	v_cvt_f32_i32_e32 v3, v3
.LBB14_1150:
	s_mov_b64 s[0:1], 0
.LBB14_1151:
	s_andn2_b64 vcc, exec, s[0:1]
	s_cbranch_vccnz .LBB14_1153
; %bb.1152:
	global_load_sshort v3, v[0:1], off
	s_waitcnt vmcnt(0)
	v_cvt_f32_i32_e32 v3, v3
.LBB14_1153:
	s_cbranch_execnz .LBB14_1159
.LBB14_1154:
	s_cmp_gt_i32 s15, 0
	s_cbranch_scc0 .LBB14_1156
; %bb.1155:
	global_load_sbyte v3, v[0:1], off
	s_mov_b64 s[0:1], 0
	s_waitcnt vmcnt(0)
	v_cvt_f32_i32_e32 v3, v3
	s_branch .LBB14_1157
.LBB14_1156:
	s_mov_b64 s[0:1], -1
                                        ; implicit-def: $vgpr3
.LBB14_1157:
	s_andn2_b64 vcc, exec, s[0:1]
	s_cbranch_vccnz .LBB14_1159
; %bb.1158:
	global_load_ubyte v0, v[0:1], off
	s_waitcnt vmcnt(0)
	v_cvt_f32_ubyte0_e32 v3, v0
.LBB14_1159:
.LBB14_1160:
	s_waitcnt vmcnt(0)
	v_cmp_lt_f32_e32 vcc, s14, v3
	v_mov_b32_e32 v1, 1.0
	s_and_saveexec_b64 s[0:1], vcc
	s_cbranch_execz .LBB14_1162
; %bb.1161:
	v_add_f32_e32 v0, 0x33d6bf95, v3
	v_div_scale_f32 v1, s[2:3], v0, v0, s14
	v_div_scale_f32 v3, vcc, s14, v0, s14
	v_rcp_f32_e32 v4, v1
	v_fma_f32 v5, -v1, v4, 1.0
	v_fmac_f32_e32 v4, v5, v4
	v_mul_f32_e32 v5, v3, v4
	v_fma_f32 v6, -v1, v5, v3
	v_fmac_f32_e32 v5, v6, v4
	v_fma_f32 v1, -v1, v5, v3
	v_div_fmas_f32 v1, v1, v4, v5
	v_div_fixup_f32 v1, v1, v0, s14
.LBB14_1162:
	s_or_b64 exec, exec, s[0:1]
	s_lshl_b32 s13, s13, 7
	v_add_u32_e32 v0, s13, v2
	v_ashrrev_i32_e32 v3, 31, v0
	v_mov_b32_e32 v4, s11
	v_add_co_u32_e32 v2, vcc, s10, v0
	s_cmp_lt_i32 s15, 11
	v_addc_co_u32_e32 v3, vcc, v4, v3, vcc
	s_cbranch_scc1 .LBB14_1169
; %bb.1163:
	s_cmp_gt_i32 s15, 25
	s_mov_b64 s[2:3], 0
	s_cbranch_scc0 .LBB14_1171
; %bb.1164:
	s_cmp_gt_i32 s15, 28
	s_cbranch_scc0 .LBB14_1172
; %bb.1165:
	s_cmp_gt_i32 s15, 43
	;; [unrolled: 3-line block ×3, first 2 shown]
	s_cbranch_scc0 .LBB14_1175
; %bb.1167:
	s_cmp_eq_u32 s15, 46
	s_mov_b64 s[20:21], 0
	s_cbranch_scc0 .LBB14_1178
; %bb.1168:
	global_load_dword v4, v[2:3], off
	s_mov_b64 s[0:1], 0
	s_mov_b64 s[18:19], -1
	s_waitcnt vmcnt(0)
	v_lshlrev_b32_e32 v4, 16, v4
	s_branch .LBB14_1179
.LBB14_1169:
	s_mov_b64 s[18:19], 0
                                        ; implicit-def: $vgpr4
	s_cbranch_execnz .LBB14_1244
.LBB14_1170:
	s_andn2_b64 vcc, exec, s[18:19]
	s_cbranch_vccnz .LBB14_1634
	s_branch .LBB14_1291
.LBB14_1171:
	s_mov_b64 s[18:19], 0
	s_mov_b64 s[0:1], 0
                                        ; implicit-def: $vgpr4
	s_cbranch_execnz .LBB14_1208
	s_branch .LBB14_1240
.LBB14_1172:
	s_mov_b64 s[20:21], -1
	s_mov_b64 s[18:19], 0
	s_mov_b64 s[0:1], 0
                                        ; implicit-def: $vgpr4
	s_branch .LBB14_1189
.LBB14_1173:
	s_mov_b64 s[20:21], -1
	s_mov_b64 s[18:19], 0
	s_mov_b64 s[0:1], 0
                                        ; implicit-def: $vgpr4
	s_branch .LBB14_1184
.LBB14_1174:
	s_or_b64 s[16:17], s[6:7], exec
	s_trap 2
	s_cbranch_execz .LBB14_1113
	s_branch .LBB14_1114
.LBB14_1175:
	s_mov_b64 s[20:21], -1
	s_mov_b64 s[18:19], 0
	s_mov_b64 s[0:1], 0
                                        ; implicit-def: $vgpr4
	s_branch .LBB14_1179
.LBB14_1176:
	s_andn2_saveexec_b64 s[26:27], s[26:27]
	s_cbranch_execz .LBB14_960
.LBB14_1177:
	s_mov_b32 s30, 0x42800000
	v_add_f32_e64 v1, |v0|, s30
	v_and_b32_e32 v1, 0xff, v1
	v_cmp_ne_u32_e32 vcc, 0, v1
	s_andn2_b64 s[24:25], s[24:25], exec
	s_and_b64 s[30:31], vcc, exec
	s_or_b64 s[24:25], s[24:25], s[30:31]
	s_or_b64 exec, exec, s[26:27]
	v_mov_b32_e32 v4, 0
	s_and_saveexec_b64 s[26:27], s[24:25]
	s_cbranch_execnz .LBB14_961
	s_branch .LBB14_962
.LBB14_1178:
	s_mov_b64 s[0:1], -1
                                        ; implicit-def: $vgpr4
	s_mov_b64 s[18:19], 0
.LBB14_1179:
	s_and_b64 vcc, exec, s[20:21]
	s_cbranch_vccz .LBB14_1183
; %bb.1180:
	s_cmp_eq_u32 s15, 44
	s_cbranch_scc0 .LBB14_1182
; %bb.1181:
	global_load_ubyte v4, v[2:3], off
	s_movk_i32 s18, 0xff
	v_mov_b32_e32 v5, 0x7f800001
	v_mov_b32_e32 v6, 0x400000
	s_mov_b64 s[0:1], 0
	s_waitcnt vmcnt(0)
	v_lshlrev_b32_e32 v7, 23, v4
	v_cmp_ne_u32_e32 vcc, s18, v4
	v_cndmask_b32_e32 v5, v5, v7, vcc
	v_cmp_ne_u32_e32 vcc, 0, v4
	v_cndmask_b32_e32 v4, v6, v5, vcc
	s_mov_b64 s[18:19], -1
	s_branch .LBB14_1183
.LBB14_1182:
	s_mov_b64 s[0:1], -1
                                        ; implicit-def: $vgpr4
.LBB14_1183:
	s_mov_b64 s[20:21], 0
.LBB14_1184:
	s_and_b64 vcc, exec, s[20:21]
	s_cbranch_vccz .LBB14_1188
; %bb.1185:
	s_cmp_eq_u32 s15, 29
	s_cbranch_scc0 .LBB14_1187
; %bb.1186:
	global_load_dwordx2 v[4:5], v[2:3], off
	s_mov_b64 s[0:1], 0
	s_mov_b64 s[18:19], -1
	s_mov_b64 s[20:21], 0
	s_waitcnt vmcnt(0)
	v_ffbh_u32_e32 v6, v5
	v_min_u32_e32 v6, 32, v6
	v_lshlrev_b64 v[4:5], v6, v[4:5]
	v_min_u32_e32 v4, 1, v4
	v_or_b32_e32 v4, v5, v4
	v_cvt_f32_u32_e32 v4, v4
	v_sub_u32_e32 v5, 32, v6
	v_ldexp_f32 v4, v4, v5
	s_branch .LBB14_1189
.LBB14_1187:
	s_mov_b64 s[0:1], -1
                                        ; implicit-def: $vgpr4
.LBB14_1188:
	s_mov_b64 s[20:21], 0
.LBB14_1189:
	s_and_b64 vcc, exec, s[20:21]
	s_cbranch_vccz .LBB14_1207
; %bb.1190:
	s_cmp_lt_i32 s15, 27
	s_cbranch_scc1 .LBB14_1193
; %bb.1191:
	s_cmp_gt_i32 s15, 27
	s_cbranch_scc0 .LBB14_1194
; %bb.1192:
	global_load_dword v4, v[2:3], off
	s_mov_b64 s[18:19], 0
	s_waitcnt vmcnt(0)
	v_cvt_f32_u32_e32 v4, v4
	s_branch .LBB14_1195
.LBB14_1193:
	s_mov_b64 s[18:19], -1
                                        ; implicit-def: $vgpr4
	s_branch .LBB14_1198
.LBB14_1194:
	s_mov_b64 s[18:19], -1
                                        ; implicit-def: $vgpr4
.LBB14_1195:
	s_andn2_b64 vcc, exec, s[18:19]
	s_cbranch_vccnz .LBB14_1197
; %bb.1196:
	global_load_ushort v4, v[2:3], off
	s_waitcnt vmcnt(0)
	v_cvt_f32_u32_e32 v4, v4
.LBB14_1197:
	s_mov_b64 s[18:19], 0
.LBB14_1198:
	s_andn2_b64 vcc, exec, s[18:19]
	s_cbranch_vccnz .LBB14_1206
; %bb.1199:
	global_load_ubyte v5, v[2:3], off
	s_movk_i32 s18, 0x7f
	s_waitcnt vmcnt(0)
	v_cmp_lt_i16_e32 vcc, s18, v5
	s_mov_b64 s[18:19], 0
	s_and_saveexec_b64 s[20:21], vcc
	s_xor_b64 s[20:21], exec, s[20:21]
	s_cbranch_execz .LBB14_1219
; %bb.1200:
	s_movk_i32 s18, 0x80
	v_cmp_eq_u16_e32 vcc, s18, v5
	s_mov_b64 s[18:19], -1
	s_and_saveexec_b64 s[22:23], vcc
; %bb.1201:
	s_xor_b64 s[18:19], exec, -1
; %bb.1202:
	s_or_b64 exec, exec, s[22:23]
	s_and_b64 s[18:19], s[18:19], exec
	s_or_saveexec_b64 s[20:21], s[20:21]
	v_mov_b32_e32 v4, 0x7f800001
	s_xor_b64 exec, exec, s[20:21]
	s_cbranch_execnz .LBB14_1220
.LBB14_1203:
	s_or_b64 exec, exec, s[20:21]
	s_and_saveexec_b64 s[20:21], s[18:19]
	s_cbranch_execz .LBB14_1205
.LBB14_1204:
	v_lshlrev_b32_e32 v4, 24, v5
	v_and_b32_e32 v5, 0xffff, v5
	v_and_b32_e32 v6, 7, v5
	v_ffbh_u32_e32 v9, v6
	v_min_u32_e32 v9, 32, v9
	v_subrev_u32_e32 v10, 28, v9
	v_bfe_u32 v7, v5, 3, 4
	v_lshlrev_b32_e32 v5, v10, v5
	v_sub_u32_e32 v9, 29, v9
	v_and_b32_e32 v5, 7, v5
	v_cmp_eq_u32_e32 vcc, 0, v7
	v_cndmask_b32_e32 v7, v7, v9, vcc
	v_cndmask_b32_e32 v5, v6, v5, vcc
	v_mov_b32_e32 v6, 0x3b800000
	v_lshlrev_b32_e32 v5, 20, v5
	v_and_b32_e32 v4, 0x80000000, v4
	v_lshl_add_u32 v6, v7, 23, v6
	v_or3_b32 v4, v4, v6, v5
.LBB14_1205:
	s_or_b64 exec, exec, s[20:21]
.LBB14_1206:
	s_mov_b64 s[18:19], -1
.LBB14_1207:
	s_branch .LBB14_1240
.LBB14_1208:
	s_cmp_gt_i32 s15, 22
	s_cbranch_scc0 .LBB14_1218
; %bb.1209:
	s_cmp_lt_i32 s15, 24
	s_cbranch_scc1 .LBB14_1221
; %bb.1210:
	s_cmp_gt_i32 s15, 24
	s_cbranch_scc0 .LBB14_1222
; %bb.1211:
	global_load_ubyte v5, v[2:3], off
	s_movk_i32 s2, 0x7f
	s_waitcnt vmcnt(0)
	v_cmp_lt_i16_e32 vcc, s2, v5
	s_mov_b64 s[2:3], 0
	s_and_saveexec_b64 s[18:19], vcc
	s_xor_b64 s[18:19], exec, s[18:19]
	s_cbranch_execz .LBB14_1234
; %bb.1212:
	s_movk_i32 s2, 0x80
	v_cmp_eq_u16_e32 vcc, s2, v5
	s_mov_b64 s[2:3], -1
	s_and_saveexec_b64 s[20:21], vcc
; %bb.1213:
	s_xor_b64 s[2:3], exec, -1
; %bb.1214:
	s_or_b64 exec, exec, s[20:21]
	s_and_b64 s[2:3], s[2:3], exec
	s_or_saveexec_b64 s[18:19], s[18:19]
	v_mov_b32_e32 v4, 0x7f800001
	s_xor_b64 exec, exec, s[18:19]
	s_cbranch_execnz .LBB14_1235
.LBB14_1215:
	s_or_b64 exec, exec, s[18:19]
	s_and_saveexec_b64 s[18:19], s[2:3]
	s_cbranch_execz .LBB14_1217
.LBB14_1216:
	v_lshlrev_b32_e32 v4, 24, v5
	v_and_b32_e32 v5, 0xffff, v5
	v_and_b32_e32 v6, 3, v5
	v_ffbh_u32_e32 v9, v6
	v_min_u32_e32 v9, 32, v9
	v_subrev_u32_e32 v10, 29, v9
	v_bfe_u32 v7, v5, 2, 5
	v_lshlrev_b32_e32 v5, v10, v5
	v_sub_u32_e32 v9, 30, v9
	v_and_b32_e32 v5, 3, v5
	v_cmp_eq_u32_e32 vcc, 0, v7
	v_cndmask_b32_e32 v7, v7, v9, vcc
	v_cndmask_b32_e32 v5, v6, v5, vcc
	v_mov_b32_e32 v6, 0x37800000
	v_lshlrev_b32_e32 v5, 21, v5
	v_and_b32_e32 v4, 0x80000000, v4
	v_lshl_add_u32 v6, v7, 23, v6
	v_or3_b32 v4, v4, v6, v5
.LBB14_1217:
	s_or_b64 exec, exec, s[18:19]
	s_mov_b64 s[2:3], 0
	s_branch .LBB14_1223
.LBB14_1218:
	s_mov_b64 s[2:3], -1
                                        ; implicit-def: $vgpr4
	s_branch .LBB14_1229
.LBB14_1219:
	s_or_saveexec_b64 s[20:21], s[20:21]
	v_mov_b32_e32 v4, 0x7f800001
	s_xor_b64 exec, exec, s[20:21]
	s_cbranch_execz .LBB14_1203
.LBB14_1220:
	v_cmp_ne_u16_e32 vcc, 0, v5
	s_andn2_b64 s[18:19], s[18:19], exec
	s_and_b64 s[22:23], vcc, exec
	v_mov_b32_e32 v4, 0
	s_or_b64 s[18:19], s[18:19], s[22:23]
	s_or_b64 exec, exec, s[20:21]
	s_and_saveexec_b64 s[20:21], s[18:19]
	s_cbranch_execnz .LBB14_1204
	s_branch .LBB14_1205
.LBB14_1221:
	s_mov_b64 s[2:3], -1
                                        ; implicit-def: $vgpr4
	s_branch .LBB14_1226
.LBB14_1222:
	s_mov_b64 s[2:3], -1
                                        ; implicit-def: $vgpr4
.LBB14_1223:
	s_and_b64 vcc, exec, s[2:3]
	s_cbranch_vccz .LBB14_1225
; %bb.1224:
	global_load_ubyte v4, v[2:3], off
	s_mov_b32 s2, 0x7f800000
	s_waitcnt vmcnt(0)
	v_lshlrev_b32_e32 v4, 24, v4
	v_and_b32_e32 v5, 0x7f000000, v4
	v_ffbh_u32_e32 v6, v5
	v_min_u32_e32 v6, 32, v6
	v_sub_u32_e64 v6, v6, 4 clamp
	v_lshlrev_b32_e32 v9, v6, v5
	v_lshlrev_b32_e32 v6, 23, v6
	v_lshrrev_b32_e32 v9, 4, v9
	v_add_u32_e32 v7, 0x1000000, v5
	v_sub_u32_e32 v6, v9, v6
	v_ashrrev_i32_e32 v7, 8, v7
	v_add_u32_e32 v6, 0x3c000000, v6
	v_and_or_b32 v6, v7, s2, v6
	v_cmp_ne_u32_e32 vcc, 0, v5
	v_cndmask_b32_e32 v5, 0, v6, vcc
	s_brev_b32 s2, 1
	v_and_or_b32 v4, v4, s2, v5
.LBB14_1225:
	s_mov_b64 s[2:3], 0
.LBB14_1226:
	s_andn2_b64 vcc, exec, s[2:3]
	s_cbranch_vccnz .LBB14_1228
; %bb.1227:
	global_load_ubyte v4, v[2:3], off
	s_movk_i32 s2, 0x7f00
	s_brev_b32 s3, 16
	s_waitcnt vmcnt(0)
	v_lshlrev_b16_e32 v5, 8, v4
	v_lshlrev_b32_e32 v4, 25, v4
	v_lshrrev_b32_e32 v6, 4, v4
	v_and_or_b32 v7, v5, s2, 0.5
	v_or_b32_e32 v6, 0x70000000, v6
	v_add_f32_e32 v7, -0.5, v7
	v_mul_f32_e32 v6, 0x7800000, v6
	v_cmp_gt_u32_e32 vcc, s3, v4
	v_bfe_i32 v5, v5, 0, 16
	v_cndmask_b32_e32 v4, v6, v7, vcc
	s_brev_b32 s2, 1
	v_and_or_b32 v4, v5, s2, v4
.LBB14_1228:
	s_mov_b64 s[2:3], 0
	s_mov_b64 s[18:19], -1
.LBB14_1229:
	s_andn2_b64 vcc, exec, s[2:3]
	s_mov_b64 s[2:3], 0
	s_cbranch_vccnz .LBB14_1240
; %bb.1230:
	s_cmp_gt_i32 s15, 14
	s_cbranch_scc0 .LBB14_1233
; %bb.1231:
	s_cmp_eq_u32 s15, 15
	s_cbranch_scc0 .LBB14_1236
; %bb.1232:
	global_load_ushort v4, v[2:3], off
	s_mov_b64 s[0:1], 0
	s_mov_b64 s[18:19], -1
	s_waitcnt vmcnt(0)
	v_lshlrev_b32_e32 v4, 16, v4
	s_branch .LBB14_1237
.LBB14_1233:
	s_mov_b64 s[20:21], -1
                                        ; implicit-def: $vgpr4
	s_branch .LBB14_1238
.LBB14_1234:
	s_or_saveexec_b64 s[18:19], s[18:19]
	v_mov_b32_e32 v4, 0x7f800001
	s_xor_b64 exec, exec, s[18:19]
	s_cbranch_execz .LBB14_1215
.LBB14_1235:
	v_cmp_ne_u16_e32 vcc, 0, v5
	s_andn2_b64 s[2:3], s[2:3], exec
	s_and_b64 s[20:21], vcc, exec
	v_mov_b32_e32 v4, 0
	s_or_b64 s[2:3], s[2:3], s[20:21]
	s_or_b64 exec, exec, s[18:19]
	s_and_saveexec_b64 s[18:19], s[2:3]
	s_cbranch_execnz .LBB14_1216
	s_branch .LBB14_1217
.LBB14_1236:
	s_mov_b64 s[0:1], -1
                                        ; implicit-def: $vgpr4
.LBB14_1237:
	s_mov_b64 s[20:21], 0
.LBB14_1238:
	s_and_b64 vcc, exec, s[20:21]
	s_cbranch_vccz .LBB14_1240
; %bb.1239:
	s_cmp_lg_u32 s15, 11
	s_mov_b64 s[2:3], -1
	s_cselect_b64 s[0:1], -1, 0
.LBB14_1240:
	s_and_b64 vcc, exec, s[0:1]
	s_cbranch_vccnz .LBB14_1305
; %bb.1241:
	s_andn2_b64 vcc, exec, s[2:3]
	s_cbranch_vccnz .LBB14_1243
.LBB14_1242:
	global_load_ubyte v4, v[2:3], off
	s_mov_b64 s[18:19], -1
	s_waitcnt vmcnt(0)
	v_cmp_ne_u16_e32 vcc, 0, v4
	v_cndmask_b32_e64 v4, 0, 1.0, vcc
.LBB14_1243:
	s_branch .LBB14_1170
.LBB14_1244:
	s_cmp_lt_i32 s15, 5
	s_cbranch_scc1 .LBB14_1249
; %bb.1245:
	s_cmp_lt_i32 s15, 8
	s_cbranch_scc1 .LBB14_1250
; %bb.1246:
	;; [unrolled: 3-line block ×3, first 2 shown]
	s_cmp_gt_i32 s15, 9
	s_cbranch_scc0 .LBB14_1252
; %bb.1248:
	global_load_dwordx2 v[4:5], v[2:3], off
	s_mov_b64 s[0:1], 0
	s_waitcnt vmcnt(0)
	v_cvt_f32_f64_e32 v4, v[4:5]
	s_branch .LBB14_1253
.LBB14_1249:
                                        ; implicit-def: $vgpr4
	s_branch .LBB14_1271
.LBB14_1250:
	s_mov_b64 s[0:1], -1
                                        ; implicit-def: $vgpr4
	s_branch .LBB14_1259
.LBB14_1251:
	s_mov_b64 s[0:1], -1
                                        ; implicit-def: $vgpr4
	s_branch .LBB14_1256
.LBB14_1252:
	s_mov_b64 s[0:1], -1
                                        ; implicit-def: $vgpr4
.LBB14_1253:
	s_andn2_b64 vcc, exec, s[0:1]
	s_cbranch_vccnz .LBB14_1255
; %bb.1254:
	global_load_dword v4, v[2:3], off
.LBB14_1255:
	s_mov_b64 s[0:1], 0
.LBB14_1256:
	s_andn2_b64 vcc, exec, s[0:1]
	s_cbranch_vccnz .LBB14_1258
; %bb.1257:
	global_load_dword v4, v[2:3], off
	s_waitcnt vmcnt(0)
	v_cvt_f32_f16_e32 v4, v4
.LBB14_1258:
	s_mov_b64 s[0:1], 0
.LBB14_1259:
	s_andn2_b64 vcc, exec, s[0:1]
	s_cbranch_vccnz .LBB14_1270
; %bb.1260:
	s_cmp_lt_i32 s15, 6
	s_cbranch_scc1 .LBB14_1263
; %bb.1261:
	s_cmp_gt_i32 s15, 6
	s_cbranch_scc0 .LBB14_1264
; %bb.1262:
	global_load_dwordx2 v[4:5], v[2:3], off
	s_mov_b64 s[0:1], 0
	s_waitcnt vmcnt(0)
	v_cvt_f32_f64_e32 v4, v[4:5]
	s_branch .LBB14_1265
.LBB14_1263:
	s_mov_b64 s[0:1], -1
                                        ; implicit-def: $vgpr4
	s_branch .LBB14_1268
.LBB14_1264:
	s_mov_b64 s[0:1], -1
                                        ; implicit-def: $vgpr4
.LBB14_1265:
	s_andn2_b64 vcc, exec, s[0:1]
	s_cbranch_vccnz .LBB14_1267
; %bb.1266:
	global_load_dword v4, v[2:3], off
.LBB14_1267:
	s_mov_b64 s[0:1], 0
.LBB14_1268:
	s_andn2_b64 vcc, exec, s[0:1]
	s_cbranch_vccnz .LBB14_1270
; %bb.1269:
	global_load_ushort v4, v[2:3], off
	s_waitcnt vmcnt(0)
	v_cvt_f32_f16_e32 v4, v4
.LBB14_1270:
	s_cbranch_execnz .LBB14_1290
.LBB14_1271:
	s_cmp_lt_i32 s15, 2
	s_cbranch_scc1 .LBB14_1275
; %bb.1272:
	s_cmp_lt_i32 s15, 3
	s_cbranch_scc1 .LBB14_1276
; %bb.1273:
	s_cmp_gt_i32 s15, 3
	s_cbranch_scc0 .LBB14_1277
; %bb.1274:
	global_load_dwordx2 v[4:5], v[2:3], off
	s_mov_b64 s[0:1], 0
	s_waitcnt vmcnt(0)
	v_xor_b32_e32 v7, v4, v5
	v_ffbh_i32_e32 v6, v5
	v_ashrrev_i32_e32 v7, 31, v7
	v_add_u32_e32 v6, -1, v6
	v_add_u32_e32 v7, 32, v7
	v_min_u32_e32 v6, v6, v7
	v_lshlrev_b64 v[4:5], v6, v[4:5]
	v_min_u32_e32 v4, 1, v4
	v_or_b32_e32 v4, v5, v4
	v_cvt_f32_i32_e32 v4, v4
	v_sub_u32_e32 v5, 32, v6
	v_ldexp_f32 v4, v4, v5
	s_branch .LBB14_1278
.LBB14_1275:
	s_mov_b64 s[0:1], -1
                                        ; implicit-def: $vgpr4
	s_branch .LBB14_1284
.LBB14_1276:
	s_mov_b64 s[0:1], -1
                                        ; implicit-def: $vgpr4
	s_branch .LBB14_1281
.LBB14_1277:
	s_mov_b64 s[0:1], -1
                                        ; implicit-def: $vgpr4
.LBB14_1278:
	s_andn2_b64 vcc, exec, s[0:1]
	s_cbranch_vccnz .LBB14_1280
; %bb.1279:
	global_load_dword v4, v[2:3], off
	s_waitcnt vmcnt(0)
	v_cvt_f32_i32_e32 v4, v4
.LBB14_1280:
	s_mov_b64 s[0:1], 0
.LBB14_1281:
	s_andn2_b64 vcc, exec, s[0:1]
	s_cbranch_vccnz .LBB14_1283
; %bb.1282:
	global_load_sshort v4, v[2:3], off
	s_waitcnt vmcnt(0)
	v_cvt_f32_i32_e32 v4, v4
.LBB14_1283:
	s_mov_b64 s[0:1], 0
.LBB14_1284:
	s_andn2_b64 vcc, exec, s[0:1]
	s_cbranch_vccnz .LBB14_1290
; %bb.1285:
	s_cmp_gt_i32 s15, 0
	s_cbranch_scc0 .LBB14_1287
; %bb.1286:
	global_load_sbyte v4, v[2:3], off
	s_mov_b64 s[0:1], 0
	s_waitcnt vmcnt(0)
	v_cvt_f32_i32_e32 v4, v4
	s_branch .LBB14_1288
.LBB14_1287:
	s_mov_b64 s[0:1], -1
                                        ; implicit-def: $vgpr4
.LBB14_1288:
	s_andn2_b64 vcc, exec, s[0:1]
	s_cbranch_vccnz .LBB14_1290
; %bb.1289:
	global_load_ubyte v2, v[2:3], off
	s_waitcnt vmcnt(0)
	v_cvt_f32_ubyte0_e32 v4, v2
.LBB14_1290:
.LBB14_1291:
	s_waitcnt vmcnt(0)
	v_cmp_lt_f32_e32 vcc, s14, v4
	v_mov_b32_e32 v3, 1.0
	s_and_saveexec_b64 s[0:1], vcc
	s_cbranch_execz .LBB14_1293
; %bb.1292:
	v_add_f32_e32 v2, 0x33d6bf95, v4
	v_div_scale_f32 v3, s[2:3], v2, v2, s14
	v_div_scale_f32 v4, vcc, s14, v2, s14
	v_rcp_f32_e32 v5, v3
	v_fma_f32 v6, -v3, v5, 1.0
	v_fmac_f32_e32 v5, v6, v5
	v_mul_f32_e32 v6, v4, v5
	v_fma_f32 v7, -v3, v6, v4
	v_fmac_f32_e32 v6, v7, v5
	v_fma_f32 v3, -v3, v6, v4
	v_div_fmas_f32 v3, v3, v5, v6
	v_div_fixup_f32 v3, v3, v2, s14
.LBB14_1293:
	s_or_b64 exec, exec, s[0:1]
	v_add_u32_e32 v0, s13, v0
	v_ashrrev_i32_e32 v2, 31, v0
	v_mov_b32_e32 v5, s11
	v_add_co_u32_e32 v4, vcc, s10, v0
	s_cmp_lt_i32 s15, 11
	v_addc_co_u32_e32 v5, vcc, v5, v2, vcc
	s_cbranch_scc1 .LBB14_1300
; %bb.1294:
	s_cmp_gt_i32 s15, 25
	s_mov_b64 s[2:3], 0
	s_cbranch_scc0 .LBB14_1302
; %bb.1295:
	s_cmp_gt_i32 s15, 28
	s_cbranch_scc0 .LBB14_1303
; %bb.1296:
	s_cmp_gt_i32 s15, 43
	;; [unrolled: 3-line block ×3, first 2 shown]
	s_cbranch_scc0 .LBB14_1306
; %bb.1298:
	s_cmp_eq_u32 s15, 46
	s_mov_b64 s[20:21], 0
	s_cbranch_scc0 .LBB14_1307
; %bb.1299:
	global_load_dword v2, v[4:5], off
	s_mov_b64 s[0:1], 0
	s_mov_b64 s[18:19], -1
	s_waitcnt vmcnt(0)
	v_lshlrev_b32_e32 v2, 16, v2
	s_branch .LBB14_1308
.LBB14_1300:
	s_mov_b64 s[18:19], 0
                                        ; implicit-def: $vgpr2
	s_cbranch_execnz .LBB14_1374
.LBB14_1301:
	s_andn2_b64 vcc, exec, s[18:19]
	s_cbranch_vccnz .LBB14_1634
	s_branch .LBB14_1422
.LBB14_1302:
	s_mov_b64 s[20:21], -1
	s_mov_b64 s[18:19], 0
	s_mov_b64 s[0:1], 0
                                        ; implicit-def: $vgpr2
	s_branch .LBB14_1337
.LBB14_1303:
	s_mov_b64 s[20:21], -1
	s_mov_b64 s[18:19], 0
	s_mov_b64 s[0:1], 0
                                        ; implicit-def: $vgpr2
	s_branch .LBB14_1318
.LBB14_1304:
	s_mov_b64 s[20:21], -1
	s_mov_b64 s[18:19], 0
	s_mov_b64 s[0:1], 0
                                        ; implicit-def: $vgpr2
	s_branch .LBB14_1313
.LBB14_1305:
	s_trap 2
	s_or_b64 s[16:17], s[16:17], exec
	s_cbranch_execz .LBB14_1242
	s_branch .LBB14_1243
.LBB14_1306:
	s_mov_b64 s[20:21], -1
	s_mov_b64 s[18:19], 0
	s_mov_b64 s[0:1], 0
                                        ; implicit-def: $vgpr2
	s_branch .LBB14_1308
.LBB14_1307:
	s_mov_b64 s[0:1], -1
                                        ; implicit-def: $vgpr2
	s_mov_b64 s[18:19], 0
.LBB14_1308:
	s_and_b64 vcc, exec, s[20:21]
	s_cbranch_vccz .LBB14_1312
; %bb.1309:
	s_cmp_eq_u32 s15, 44
	s_cbranch_scc0 .LBB14_1311
; %bb.1310:
	global_load_ubyte v2, v[4:5], off
	s_movk_i32 s18, 0xff
	v_mov_b32_e32 v6, 0x7f800001
	v_mov_b32_e32 v7, 0x400000
	s_mov_b64 s[0:1], 0
	s_waitcnt vmcnt(0)
	v_lshlrev_b32_e32 v9, 23, v2
	v_cmp_ne_u32_e32 vcc, s18, v2
	v_cndmask_b32_e32 v6, v6, v9, vcc
	v_cmp_ne_u32_e32 vcc, 0, v2
	v_cndmask_b32_e32 v2, v7, v6, vcc
	s_mov_b64 s[18:19], -1
	s_branch .LBB14_1312
.LBB14_1311:
	s_mov_b64 s[0:1], -1
                                        ; implicit-def: $vgpr2
.LBB14_1312:
	s_mov_b64 s[20:21], 0
.LBB14_1313:
	s_and_b64 vcc, exec, s[20:21]
	s_cbranch_vccz .LBB14_1317
; %bb.1314:
	s_cmp_eq_u32 s15, 29
	s_cbranch_scc0 .LBB14_1316
; %bb.1315:
	global_load_dwordx2 v[6:7], v[4:5], off
	s_mov_b64 s[0:1], 0
	s_mov_b64 s[18:19], -1
	s_mov_b64 s[20:21], 0
	s_waitcnt vmcnt(0)
	v_ffbh_u32_e32 v2, v7
	v_min_u32_e32 v2, 32, v2
	v_lshlrev_b64 v[6:7], v2, v[6:7]
	v_sub_u32_e32 v2, 32, v2
	v_min_u32_e32 v6, 1, v6
	v_or_b32_e32 v6, v7, v6
	v_cvt_f32_u32_e32 v6, v6
	v_ldexp_f32 v2, v6, v2
	s_branch .LBB14_1318
.LBB14_1316:
	s_mov_b64 s[0:1], -1
                                        ; implicit-def: $vgpr2
.LBB14_1317:
	s_mov_b64 s[20:21], 0
.LBB14_1318:
	s_and_b64 vcc, exec, s[20:21]
	s_cbranch_vccz .LBB14_1336
; %bb.1319:
	s_cmp_lt_i32 s15, 27
	s_cbranch_scc1 .LBB14_1322
; %bb.1320:
	s_cmp_gt_i32 s15, 27
	s_cbranch_scc0 .LBB14_1323
; %bb.1321:
	global_load_dword v2, v[4:5], off
	s_mov_b64 s[18:19], 0
	s_waitcnt vmcnt(0)
	v_cvt_f32_u32_e32 v2, v2
	s_branch .LBB14_1324
.LBB14_1322:
	s_mov_b64 s[18:19], -1
                                        ; implicit-def: $vgpr2
	s_branch .LBB14_1327
.LBB14_1323:
	s_mov_b64 s[18:19], -1
                                        ; implicit-def: $vgpr2
.LBB14_1324:
	s_andn2_b64 vcc, exec, s[18:19]
	s_cbranch_vccnz .LBB14_1326
; %bb.1325:
	global_load_ushort v2, v[4:5], off
	s_waitcnt vmcnt(0)
	v_cvt_f32_u32_e32 v2, v2
.LBB14_1326:
	s_mov_b64 s[18:19], 0
.LBB14_1327:
	s_andn2_b64 vcc, exec, s[18:19]
	s_cbranch_vccnz .LBB14_1335
; %bb.1328:
	global_load_ubyte v6, v[4:5], off
	s_movk_i32 s18, 0x7f
	s_waitcnt vmcnt(0)
	v_cmp_lt_i16_e32 vcc, s18, v6
	s_mov_b64 s[18:19], 0
	s_and_saveexec_b64 s[20:21], vcc
	s_xor_b64 s[20:21], exec, s[20:21]
	s_cbranch_execz .LBB14_1349
; %bb.1329:
	s_movk_i32 s18, 0x80
	v_cmp_eq_u16_e32 vcc, s18, v6
	s_mov_b64 s[18:19], -1
	s_and_saveexec_b64 s[22:23], vcc
; %bb.1330:
	s_xor_b64 s[18:19], exec, -1
; %bb.1331:
	s_or_b64 exec, exec, s[22:23]
	s_and_b64 s[18:19], s[18:19], exec
	s_or_saveexec_b64 s[20:21], s[20:21]
	v_mov_b32_e32 v2, 0x7f800001
	s_xor_b64 exec, exec, s[20:21]
	s_cbranch_execnz .LBB14_1350
.LBB14_1332:
	s_or_b64 exec, exec, s[20:21]
	s_and_saveexec_b64 s[20:21], s[18:19]
	s_cbranch_execz .LBB14_1334
.LBB14_1333:
	v_lshlrev_b32_e32 v2, 24, v6
	v_and_b32_e32 v6, 0xffff, v6
	v_and_b32_e32 v7, 7, v6
	v_ffbh_u32_e32 v10, v7
	v_min_u32_e32 v10, 32, v10
	v_subrev_u32_e32 v11, 28, v10
	v_bfe_u32 v9, v6, 3, 4
	v_lshlrev_b32_e32 v6, v11, v6
	v_sub_u32_e32 v10, 29, v10
	v_and_b32_e32 v6, 7, v6
	v_cmp_eq_u32_e32 vcc, 0, v9
	v_cndmask_b32_e32 v9, v9, v10, vcc
	v_cndmask_b32_e32 v6, v7, v6, vcc
	v_mov_b32_e32 v7, 0x3b800000
	v_lshlrev_b32_e32 v6, 20, v6
	v_and_b32_e32 v2, 0x80000000, v2
	v_lshl_add_u32 v7, v9, 23, v7
	v_or3_b32 v2, v2, v7, v6
.LBB14_1334:
	s_or_b64 exec, exec, s[20:21]
.LBB14_1335:
	s_mov_b64 s[18:19], -1
.LBB14_1336:
	s_mov_b64 s[20:21], 0
.LBB14_1337:
	s_and_b64 vcc, exec, s[20:21]
	s_cbranch_vccz .LBB14_1370
; %bb.1338:
	s_cmp_gt_i32 s15, 22
	s_cbranch_scc0 .LBB14_1348
; %bb.1339:
	s_cmp_lt_i32 s15, 24
	s_cbranch_scc1 .LBB14_1351
; %bb.1340:
	s_cmp_gt_i32 s15, 24
	s_cbranch_scc0 .LBB14_1352
; %bb.1341:
	global_load_ubyte v6, v[4:5], off
	s_movk_i32 s2, 0x7f
	s_waitcnt vmcnt(0)
	v_cmp_lt_i16_e32 vcc, s2, v6
	s_mov_b64 s[2:3], 0
	s_and_saveexec_b64 s[18:19], vcc
	s_xor_b64 s[18:19], exec, s[18:19]
	s_cbranch_execz .LBB14_1364
; %bb.1342:
	s_movk_i32 s2, 0x80
	v_cmp_eq_u16_e32 vcc, s2, v6
	s_mov_b64 s[2:3], -1
	s_and_saveexec_b64 s[20:21], vcc
; %bb.1343:
	s_xor_b64 s[2:3], exec, -1
; %bb.1344:
	s_or_b64 exec, exec, s[20:21]
	s_and_b64 s[2:3], s[2:3], exec
	s_or_saveexec_b64 s[18:19], s[18:19]
	v_mov_b32_e32 v2, 0x7f800001
	s_xor_b64 exec, exec, s[18:19]
	s_cbranch_execnz .LBB14_1365
.LBB14_1345:
	s_or_b64 exec, exec, s[18:19]
	s_and_saveexec_b64 s[18:19], s[2:3]
	s_cbranch_execz .LBB14_1347
.LBB14_1346:
	v_lshlrev_b32_e32 v2, 24, v6
	v_and_b32_e32 v6, 0xffff, v6
	v_and_b32_e32 v7, 3, v6
	v_ffbh_u32_e32 v10, v7
	v_min_u32_e32 v10, 32, v10
	v_subrev_u32_e32 v11, 29, v10
	v_bfe_u32 v9, v6, 2, 5
	v_lshlrev_b32_e32 v6, v11, v6
	v_sub_u32_e32 v10, 30, v10
	v_and_b32_e32 v6, 3, v6
	v_cmp_eq_u32_e32 vcc, 0, v9
	v_cndmask_b32_e32 v9, v9, v10, vcc
	v_cndmask_b32_e32 v6, v7, v6, vcc
	v_mov_b32_e32 v7, 0x37800000
	v_lshlrev_b32_e32 v6, 21, v6
	v_and_b32_e32 v2, 0x80000000, v2
	v_lshl_add_u32 v7, v9, 23, v7
	v_or3_b32 v2, v2, v7, v6
.LBB14_1347:
	s_or_b64 exec, exec, s[18:19]
	s_mov_b64 s[2:3], 0
	s_branch .LBB14_1353
.LBB14_1348:
	s_mov_b64 s[2:3], -1
                                        ; implicit-def: $vgpr2
	s_branch .LBB14_1359
.LBB14_1349:
	s_or_saveexec_b64 s[20:21], s[20:21]
	v_mov_b32_e32 v2, 0x7f800001
	s_xor_b64 exec, exec, s[20:21]
	s_cbranch_execz .LBB14_1332
.LBB14_1350:
	v_cmp_ne_u16_e32 vcc, 0, v6
	s_andn2_b64 s[18:19], s[18:19], exec
	s_and_b64 s[22:23], vcc, exec
	v_mov_b32_e32 v2, 0
	s_or_b64 s[18:19], s[18:19], s[22:23]
	s_or_b64 exec, exec, s[20:21]
	s_and_saveexec_b64 s[20:21], s[18:19]
	s_cbranch_execnz .LBB14_1333
	s_branch .LBB14_1334
.LBB14_1351:
	s_mov_b64 s[2:3], -1
                                        ; implicit-def: $vgpr2
	s_branch .LBB14_1356
.LBB14_1352:
	s_mov_b64 s[2:3], -1
                                        ; implicit-def: $vgpr2
.LBB14_1353:
	s_and_b64 vcc, exec, s[2:3]
	s_cbranch_vccz .LBB14_1355
; %bb.1354:
	global_load_ubyte v2, v[4:5], off
	s_mov_b32 s2, 0x7f800000
	s_waitcnt vmcnt(0)
	v_lshlrev_b32_e32 v2, 24, v2
	v_and_b32_e32 v6, 0x7f000000, v2
	v_ffbh_u32_e32 v7, v6
	v_min_u32_e32 v7, 32, v7
	v_sub_u32_e64 v7, v7, 4 clamp
	v_lshlrev_b32_e32 v10, v7, v6
	v_lshlrev_b32_e32 v7, 23, v7
	v_lshrrev_b32_e32 v10, 4, v10
	v_add_u32_e32 v9, 0x1000000, v6
	v_sub_u32_e32 v7, v10, v7
	v_ashrrev_i32_e32 v9, 8, v9
	v_add_u32_e32 v7, 0x3c000000, v7
	v_and_or_b32 v7, v9, s2, v7
	v_cmp_ne_u32_e32 vcc, 0, v6
	v_cndmask_b32_e32 v6, 0, v7, vcc
	s_brev_b32 s2, 1
	v_and_or_b32 v2, v2, s2, v6
.LBB14_1355:
	s_mov_b64 s[2:3], 0
.LBB14_1356:
	s_andn2_b64 vcc, exec, s[2:3]
	s_cbranch_vccnz .LBB14_1358
; %bb.1357:
	global_load_ubyte v2, v[4:5], off
	s_movk_i32 s2, 0x7f00
	s_brev_b32 s3, 16
	s_waitcnt vmcnt(0)
	v_lshlrev_b16_e32 v6, 8, v2
	v_lshlrev_b32_e32 v2, 25, v2
	v_lshrrev_b32_e32 v7, 4, v2
	v_and_or_b32 v9, v6, s2, 0.5
	v_or_b32_e32 v7, 0x70000000, v7
	v_add_f32_e32 v9, -0.5, v9
	v_mul_f32_e32 v7, 0x7800000, v7
	v_cmp_gt_u32_e32 vcc, s3, v2
	v_bfe_i32 v6, v6, 0, 16
	v_cndmask_b32_e32 v2, v7, v9, vcc
	s_brev_b32 s2, 1
	v_and_or_b32 v2, v6, s2, v2
.LBB14_1358:
	s_mov_b64 s[2:3], 0
	s_mov_b64 s[18:19], -1
.LBB14_1359:
	s_andn2_b64 vcc, exec, s[2:3]
	s_mov_b64 s[2:3], 0
	s_cbranch_vccnz .LBB14_1370
; %bb.1360:
	s_cmp_gt_i32 s15, 14
	s_cbranch_scc0 .LBB14_1363
; %bb.1361:
	s_cmp_eq_u32 s15, 15
	s_cbranch_scc0 .LBB14_1366
; %bb.1362:
	global_load_ushort v2, v[4:5], off
	s_mov_b64 s[0:1], 0
	s_mov_b64 s[18:19], -1
	s_waitcnt vmcnt(0)
	v_lshlrev_b32_e32 v2, 16, v2
	s_branch .LBB14_1367
.LBB14_1363:
	s_mov_b64 s[20:21], -1
                                        ; implicit-def: $vgpr2
	s_branch .LBB14_1368
.LBB14_1364:
	s_or_saveexec_b64 s[18:19], s[18:19]
	v_mov_b32_e32 v2, 0x7f800001
	s_xor_b64 exec, exec, s[18:19]
	s_cbranch_execz .LBB14_1345
.LBB14_1365:
	v_cmp_ne_u16_e32 vcc, 0, v6
	s_andn2_b64 s[2:3], s[2:3], exec
	s_and_b64 s[20:21], vcc, exec
	v_mov_b32_e32 v2, 0
	s_or_b64 s[2:3], s[2:3], s[20:21]
	s_or_b64 exec, exec, s[18:19]
	s_and_saveexec_b64 s[18:19], s[2:3]
	s_cbranch_execnz .LBB14_1346
	s_branch .LBB14_1347
.LBB14_1366:
	s_mov_b64 s[0:1], -1
                                        ; implicit-def: $vgpr2
.LBB14_1367:
	s_mov_b64 s[20:21], 0
.LBB14_1368:
	s_and_b64 vcc, exec, s[20:21]
	s_cbranch_vccz .LBB14_1370
; %bb.1369:
	s_cmp_lg_u32 s15, 11
	s_mov_b64 s[2:3], -1
	s_cselect_b64 s[0:1], -1, 0
.LBB14_1370:
	s_and_b64 vcc, exec, s[0:1]
	s_cbranch_vccnz .LBB14_1435
; %bb.1371:
	s_andn2_b64 vcc, exec, s[2:3]
	s_cbranch_vccnz .LBB14_1373
.LBB14_1372:
	global_load_ubyte v2, v[4:5], off
	s_mov_b64 s[18:19], -1
	s_waitcnt vmcnt(0)
	v_cmp_ne_u16_e32 vcc, 0, v2
	v_cndmask_b32_e64 v2, 0, 1.0, vcc
.LBB14_1373:
	s_branch .LBB14_1301
.LBB14_1374:
	s_cmp_lt_i32 s15, 5
	s_cbranch_scc1 .LBB14_1379
; %bb.1375:
	s_cmp_lt_i32 s15, 8
	s_cbranch_scc1 .LBB14_1380
; %bb.1376:
	;; [unrolled: 3-line block ×3, first 2 shown]
	s_cmp_gt_i32 s15, 9
	s_cbranch_scc0 .LBB14_1382
; %bb.1378:
	global_load_dwordx2 v[6:7], v[4:5], off
	s_mov_b64 s[0:1], 0
	s_waitcnt vmcnt(0)
	v_cvt_f32_f64_e32 v2, v[6:7]
	s_branch .LBB14_1383
.LBB14_1379:
	s_mov_b64 s[0:1], -1
                                        ; implicit-def: $vgpr2
	s_branch .LBB14_1401
.LBB14_1380:
	s_mov_b64 s[0:1], -1
                                        ; implicit-def: $vgpr2
	s_branch .LBB14_1389
.LBB14_1381:
	s_mov_b64 s[0:1], -1
                                        ; implicit-def: $vgpr2
	s_branch .LBB14_1386
.LBB14_1382:
	s_mov_b64 s[0:1], -1
                                        ; implicit-def: $vgpr2
.LBB14_1383:
	s_andn2_b64 vcc, exec, s[0:1]
	s_cbranch_vccnz .LBB14_1385
; %bb.1384:
	global_load_dword v2, v[4:5], off
.LBB14_1385:
	s_mov_b64 s[0:1], 0
.LBB14_1386:
	s_andn2_b64 vcc, exec, s[0:1]
	s_cbranch_vccnz .LBB14_1388
; %bb.1387:
	global_load_dword v2, v[4:5], off
	s_waitcnt vmcnt(0)
	v_cvt_f32_f16_e32 v2, v2
.LBB14_1388:
	s_mov_b64 s[0:1], 0
.LBB14_1389:
	s_andn2_b64 vcc, exec, s[0:1]
	s_cbranch_vccnz .LBB14_1400
; %bb.1390:
	s_cmp_lt_i32 s15, 6
	s_cbranch_scc1 .LBB14_1393
; %bb.1391:
	s_cmp_gt_i32 s15, 6
	s_cbranch_scc0 .LBB14_1394
; %bb.1392:
	global_load_dwordx2 v[6:7], v[4:5], off
	s_mov_b64 s[0:1], 0
	s_waitcnt vmcnt(0)
	v_cvt_f32_f64_e32 v2, v[6:7]
	s_branch .LBB14_1395
.LBB14_1393:
	s_mov_b64 s[0:1], -1
                                        ; implicit-def: $vgpr2
	s_branch .LBB14_1398
.LBB14_1394:
	s_mov_b64 s[0:1], -1
                                        ; implicit-def: $vgpr2
.LBB14_1395:
	s_andn2_b64 vcc, exec, s[0:1]
	s_cbranch_vccnz .LBB14_1397
; %bb.1396:
	global_load_dword v2, v[4:5], off
.LBB14_1397:
	s_mov_b64 s[0:1], 0
.LBB14_1398:
	s_andn2_b64 vcc, exec, s[0:1]
	s_cbranch_vccnz .LBB14_1400
; %bb.1399:
	global_load_ushort v2, v[4:5], off
	s_waitcnt vmcnt(0)
	v_cvt_f32_f16_e32 v2, v2
.LBB14_1400:
	s_mov_b64 s[0:1], 0
.LBB14_1401:
	s_andn2_b64 vcc, exec, s[0:1]
	s_cbranch_vccnz .LBB14_1421
; %bb.1402:
	s_cmp_lt_i32 s15, 2
	s_cbranch_scc1 .LBB14_1406
; %bb.1403:
	s_cmp_lt_i32 s15, 3
	s_cbranch_scc1 .LBB14_1407
; %bb.1404:
	s_cmp_gt_i32 s15, 3
	s_cbranch_scc0 .LBB14_1408
; %bb.1405:
	global_load_dwordx2 v[6:7], v[4:5], off
	s_mov_b64 s[0:1], 0
	s_waitcnt vmcnt(0)
	v_xor_b32_e32 v9, v6, v7
	v_ffbh_i32_e32 v2, v7
	v_ashrrev_i32_e32 v9, 31, v9
	v_add_u32_e32 v2, -1, v2
	v_add_u32_e32 v9, 32, v9
	v_min_u32_e32 v2, v2, v9
	v_lshlrev_b64 v[6:7], v2, v[6:7]
	v_sub_u32_e32 v2, 32, v2
	v_min_u32_e32 v6, 1, v6
	v_or_b32_e32 v6, v7, v6
	v_cvt_f32_i32_e32 v6, v6
	v_ldexp_f32 v2, v6, v2
	s_branch .LBB14_1409
.LBB14_1406:
	s_mov_b64 s[0:1], -1
                                        ; implicit-def: $vgpr2
	s_branch .LBB14_1415
.LBB14_1407:
	s_mov_b64 s[0:1], -1
                                        ; implicit-def: $vgpr2
	s_branch .LBB14_1412
.LBB14_1408:
	s_mov_b64 s[0:1], -1
                                        ; implicit-def: $vgpr2
.LBB14_1409:
	s_andn2_b64 vcc, exec, s[0:1]
	s_cbranch_vccnz .LBB14_1411
; %bb.1410:
	global_load_dword v2, v[4:5], off
	s_waitcnt vmcnt(0)
	v_cvt_f32_i32_e32 v2, v2
.LBB14_1411:
	s_mov_b64 s[0:1], 0
.LBB14_1412:
	s_andn2_b64 vcc, exec, s[0:1]
	s_cbranch_vccnz .LBB14_1414
; %bb.1413:
	global_load_sshort v2, v[4:5], off
	s_waitcnt vmcnt(0)
	v_cvt_f32_i32_e32 v2, v2
.LBB14_1414:
	s_mov_b64 s[0:1], 0
.LBB14_1415:
	s_andn2_b64 vcc, exec, s[0:1]
	s_cbranch_vccnz .LBB14_1421
; %bb.1416:
	s_cmp_gt_i32 s15, 0
	s_cbranch_scc0 .LBB14_1418
; %bb.1417:
	global_load_sbyte v2, v[4:5], off
	s_mov_b64 s[0:1], 0
	s_waitcnt vmcnt(0)
	v_cvt_f32_i32_e32 v2, v2
	s_branch .LBB14_1419
.LBB14_1418:
	s_mov_b64 s[0:1], -1
                                        ; implicit-def: $vgpr2
.LBB14_1419:
	s_andn2_b64 vcc, exec, s[0:1]
	s_cbranch_vccnz .LBB14_1421
; %bb.1420:
	global_load_ubyte v2, v[4:5], off
	s_waitcnt vmcnt(0)
	v_cvt_f32_ubyte0_e32 v2, v2
.LBB14_1421:
.LBB14_1422:
	s_waitcnt vmcnt(0)
	v_cmp_lt_f32_e32 vcc, s14, v2
	v_mov_b32_e32 v5, 1.0
	s_and_saveexec_b64 s[0:1], vcc
	s_cbranch_execz .LBB14_1424
; %bb.1423:
	v_add_f32_e32 v2, 0x33d6bf95, v2
	v_div_scale_f32 v4, s[2:3], v2, v2, s14
	v_div_scale_f32 v5, vcc, s14, v2, s14
	v_rcp_f32_e32 v6, v4
	v_fma_f32 v7, -v4, v6, 1.0
	v_fmac_f32_e32 v6, v7, v6
	v_mul_f32_e32 v7, v5, v6
	v_fma_f32 v9, -v4, v7, v5
	v_fmac_f32_e32 v7, v9, v6
	v_fma_f32 v4, -v4, v7, v5
	v_div_fmas_f32 v4, v4, v6, v7
	v_div_fixup_f32 v5, v4, v2, s14
.LBB14_1424:
	s_or_b64 exec, exec, s[0:1]
	v_add_u32_e32 v0, s13, v0
	v_ashrrev_i32_e32 v2, 31, v0
	v_mov_b32_e32 v4, s11
	v_add_co_u32_e32 v6, vcc, s10, v0
	s_cmp_lt_i32 s15, 11
	v_addc_co_u32_e32 v7, vcc, v4, v2, vcc
	s_cbranch_scc1 .LBB14_1431
; %bb.1425:
	s_cmp_gt_i32 s15, 25
	s_mov_b64 s[2:3], 0
	s_cbranch_scc0 .LBB14_1432
; %bb.1426:
	s_cmp_gt_i32 s15, 28
	s_cbranch_scc0 .LBB14_1433
; %bb.1427:
	s_cmp_gt_i32 s15, 43
	;; [unrolled: 3-line block ×3, first 2 shown]
	s_cbranch_scc0 .LBB14_1436
; %bb.1429:
	s_cmp_eq_u32 s15, 46
	s_mov_b64 s[18:19], 0
	s_cbranch_scc0 .LBB14_1437
; %bb.1430:
	global_load_dword v0, v[6:7], off
	s_mov_b64 s[0:1], 0
	s_mov_b64 s[10:11], -1
	s_waitcnt vmcnt(0)
	v_lshlrev_b32_e32 v2, 16, v0
	s_branch .LBB14_1438
.LBB14_1431:
	s_mov_b64 s[0:1], -1
	s_mov_b64 s[10:11], 0
                                        ; implicit-def: $vgpr2
	s_branch .LBB14_1504
.LBB14_1432:
	s_mov_b64 s[18:19], -1
	s_mov_b64 s[10:11], 0
	s_mov_b64 s[0:1], 0
                                        ; implicit-def: $vgpr2
	s_branch .LBB14_1467
.LBB14_1433:
	s_mov_b64 s[18:19], -1
	s_mov_b64 s[10:11], 0
	s_mov_b64 s[0:1], 0
                                        ; implicit-def: $vgpr2
	s_branch .LBB14_1448
.LBB14_1434:
	s_mov_b64 s[18:19], -1
	s_mov_b64 s[10:11], 0
	s_mov_b64 s[0:1], 0
                                        ; implicit-def: $vgpr2
	s_branch .LBB14_1443
.LBB14_1435:
	s_trap 2
	s_or_b64 s[16:17], s[16:17], exec
	s_cbranch_execz .LBB14_1372
	s_branch .LBB14_1373
.LBB14_1436:
	s_mov_b64 s[18:19], -1
	s_mov_b64 s[10:11], 0
	s_mov_b64 s[0:1], 0
                                        ; implicit-def: $vgpr2
	s_branch .LBB14_1438
.LBB14_1437:
	s_mov_b64 s[0:1], -1
                                        ; implicit-def: $vgpr2
	s_mov_b64 s[10:11], 0
.LBB14_1438:
	s_and_b64 vcc, exec, s[18:19]
	s_cbranch_vccz .LBB14_1442
; %bb.1439:
	s_cmp_eq_u32 s15, 44
	s_cbranch_scc0 .LBB14_1441
; %bb.1440:
	global_load_ubyte v0, v[6:7], off
	s_movk_i32 s10, 0xff
	v_mov_b32_e32 v2, 0x7f800001
	v_mov_b32_e32 v4, 0x400000
	s_mov_b64 s[0:1], 0
	s_waitcnt vmcnt(0)
	v_lshlrev_b32_e32 v9, 23, v0
	v_cmp_ne_u32_e32 vcc, s10, v0
	v_cndmask_b32_e32 v2, v2, v9, vcc
	v_cmp_ne_u32_e32 vcc, 0, v0
	v_cndmask_b32_e32 v2, v4, v2, vcc
	s_mov_b64 s[10:11], -1
	s_branch .LBB14_1442
.LBB14_1441:
	s_mov_b64 s[0:1], -1
                                        ; implicit-def: $vgpr2
.LBB14_1442:
	s_mov_b64 s[18:19], 0
.LBB14_1443:
	s_and_b64 vcc, exec, s[18:19]
	s_cbranch_vccz .LBB14_1447
; %bb.1444:
	s_cmp_eq_u32 s15, 29
	s_cbranch_scc0 .LBB14_1446
; %bb.1445:
	global_load_dwordx2 v[9:10], v[6:7], off
	s_mov_b64 s[0:1], 0
	s_mov_b64 s[10:11], -1
	s_mov_b64 s[18:19], 0
	s_waitcnt vmcnt(0)
	v_ffbh_u32_e32 v0, v10
	v_min_u32_e32 v0, 32, v0
	v_lshlrev_b64 v[9:10], v0, v[9:10]
	v_sub_u32_e32 v0, 32, v0
	v_min_u32_e32 v2, 1, v9
	v_or_b32_e32 v2, v10, v2
	v_cvt_f32_u32_e32 v2, v2
	v_ldexp_f32 v2, v2, v0
	s_branch .LBB14_1448
.LBB14_1446:
	s_mov_b64 s[0:1], -1
                                        ; implicit-def: $vgpr2
.LBB14_1447:
	s_mov_b64 s[18:19], 0
.LBB14_1448:
	s_and_b64 vcc, exec, s[18:19]
	s_cbranch_vccz .LBB14_1466
; %bb.1449:
	s_cmp_lt_i32 s15, 27
	s_cbranch_scc1 .LBB14_1452
; %bb.1450:
	s_cmp_gt_i32 s15, 27
	s_cbranch_scc0 .LBB14_1453
; %bb.1451:
	global_load_dword v0, v[6:7], off
	s_mov_b64 s[10:11], 0
	s_waitcnt vmcnt(0)
	v_cvt_f32_u32_e32 v2, v0
	s_branch .LBB14_1454
.LBB14_1452:
	s_mov_b64 s[10:11], -1
                                        ; implicit-def: $vgpr2
	s_branch .LBB14_1457
.LBB14_1453:
	s_mov_b64 s[10:11], -1
                                        ; implicit-def: $vgpr2
.LBB14_1454:
	s_andn2_b64 vcc, exec, s[10:11]
	s_cbranch_vccnz .LBB14_1456
; %bb.1455:
	global_load_ushort v0, v[6:7], off
	s_waitcnt vmcnt(0)
	v_cvt_f32_u32_e32 v2, v0
.LBB14_1456:
	s_mov_b64 s[10:11], 0
.LBB14_1457:
	s_andn2_b64 vcc, exec, s[10:11]
	s_cbranch_vccnz .LBB14_1465
; %bb.1458:
	global_load_ubyte v0, v[6:7], off
	s_movk_i32 s10, 0x7f
	s_waitcnt vmcnt(0)
	v_cmp_lt_i16_e32 vcc, s10, v0
	s_mov_b64 s[10:11], 0
	s_and_saveexec_b64 s[18:19], vcc
	s_xor_b64 s[18:19], exec, s[18:19]
	s_cbranch_execz .LBB14_1479
; %bb.1459:
	s_movk_i32 s10, 0x80
	v_cmp_eq_u16_e32 vcc, s10, v0
	s_mov_b64 s[10:11], -1
	s_and_saveexec_b64 s[20:21], vcc
; %bb.1460:
	s_xor_b64 s[10:11], exec, -1
; %bb.1461:
	s_or_b64 exec, exec, s[20:21]
	s_and_b64 s[10:11], s[10:11], exec
	s_or_saveexec_b64 s[18:19], s[18:19]
	v_mov_b32_e32 v2, 0x7f800001
	s_xor_b64 exec, exec, s[18:19]
	s_cbranch_execnz .LBB14_1480
.LBB14_1462:
	s_or_b64 exec, exec, s[18:19]
	s_and_saveexec_b64 s[18:19], s[10:11]
	s_cbranch_execz .LBB14_1464
.LBB14_1463:
	v_lshlrev_b32_e32 v2, 24, v0
	v_and_b32_e32 v0, 0xffff, v0
	v_and_b32_e32 v4, 7, v0
	v_ffbh_u32_e32 v10, v4
	v_min_u32_e32 v10, 32, v10
	v_subrev_u32_e32 v11, 28, v10
	v_bfe_u32 v9, v0, 3, 4
	v_lshlrev_b32_e32 v0, v11, v0
	v_sub_u32_e32 v10, 29, v10
	v_and_b32_e32 v0, 7, v0
	v_cmp_eq_u32_e32 vcc, 0, v9
	v_cndmask_b32_e32 v9, v9, v10, vcc
	v_cndmask_b32_e32 v0, v4, v0, vcc
	v_mov_b32_e32 v4, 0x3b800000
	v_lshlrev_b32_e32 v0, 20, v0
	v_and_b32_e32 v2, 0x80000000, v2
	v_lshl_add_u32 v4, v9, 23, v4
	v_or3_b32 v2, v2, v4, v0
.LBB14_1464:
	s_or_b64 exec, exec, s[18:19]
.LBB14_1465:
	s_mov_b64 s[10:11], -1
.LBB14_1466:
	s_mov_b64 s[18:19], 0
.LBB14_1467:
	s_and_b64 vcc, exec, s[18:19]
	s_cbranch_vccz .LBB14_1500
; %bb.1468:
	s_cmp_gt_i32 s15, 22
	s_cbranch_scc0 .LBB14_1478
; %bb.1469:
	s_cmp_lt_i32 s15, 24
	s_cbranch_scc1 .LBB14_1481
; %bb.1470:
	s_cmp_gt_i32 s15, 24
	s_cbranch_scc0 .LBB14_1482
; %bb.1471:
	global_load_ubyte v0, v[6:7], off
	s_movk_i32 s2, 0x7f
	s_waitcnt vmcnt(0)
	v_cmp_lt_i16_e32 vcc, s2, v0
	s_mov_b64 s[2:3], 0
	s_and_saveexec_b64 s[10:11], vcc
	s_xor_b64 s[10:11], exec, s[10:11]
	s_cbranch_execz .LBB14_1494
; %bb.1472:
	s_movk_i32 s2, 0x80
	v_cmp_eq_u16_e32 vcc, s2, v0
	s_mov_b64 s[2:3], -1
	s_and_saveexec_b64 s[18:19], vcc
; %bb.1473:
	s_xor_b64 s[2:3], exec, -1
; %bb.1474:
	s_or_b64 exec, exec, s[18:19]
	s_and_b64 s[2:3], s[2:3], exec
	s_or_saveexec_b64 s[10:11], s[10:11]
	v_mov_b32_e32 v2, 0x7f800001
	s_xor_b64 exec, exec, s[10:11]
	s_cbranch_execnz .LBB14_1495
.LBB14_1475:
	s_or_b64 exec, exec, s[10:11]
	s_and_saveexec_b64 s[10:11], s[2:3]
	s_cbranch_execz .LBB14_1477
.LBB14_1476:
	v_lshlrev_b32_e32 v2, 24, v0
	v_and_b32_e32 v0, 0xffff, v0
	v_and_b32_e32 v4, 3, v0
	v_ffbh_u32_e32 v10, v4
	v_min_u32_e32 v10, 32, v10
	v_subrev_u32_e32 v11, 29, v10
	v_bfe_u32 v9, v0, 2, 5
	v_lshlrev_b32_e32 v0, v11, v0
	v_sub_u32_e32 v10, 30, v10
	v_and_b32_e32 v0, 3, v0
	v_cmp_eq_u32_e32 vcc, 0, v9
	v_cndmask_b32_e32 v9, v9, v10, vcc
	v_cndmask_b32_e32 v0, v4, v0, vcc
	v_mov_b32_e32 v4, 0x37800000
	v_lshlrev_b32_e32 v0, 21, v0
	v_and_b32_e32 v2, 0x80000000, v2
	v_lshl_add_u32 v4, v9, 23, v4
	v_or3_b32 v2, v2, v4, v0
.LBB14_1477:
	s_or_b64 exec, exec, s[10:11]
	s_mov_b64 s[2:3], 0
	s_branch .LBB14_1483
.LBB14_1478:
	s_mov_b64 s[2:3], -1
                                        ; implicit-def: $vgpr2
	s_branch .LBB14_1489
.LBB14_1479:
	s_or_saveexec_b64 s[18:19], s[18:19]
	v_mov_b32_e32 v2, 0x7f800001
	s_xor_b64 exec, exec, s[18:19]
	s_cbranch_execz .LBB14_1462
.LBB14_1480:
	v_cmp_ne_u16_e32 vcc, 0, v0
	s_andn2_b64 s[10:11], s[10:11], exec
	s_and_b64 s[20:21], vcc, exec
	v_mov_b32_e32 v2, 0
	s_or_b64 s[10:11], s[10:11], s[20:21]
	s_or_b64 exec, exec, s[18:19]
	s_and_saveexec_b64 s[18:19], s[10:11]
	s_cbranch_execnz .LBB14_1463
	s_branch .LBB14_1464
.LBB14_1481:
	s_mov_b64 s[2:3], -1
                                        ; implicit-def: $vgpr2
	s_branch .LBB14_1486
.LBB14_1482:
	s_mov_b64 s[2:3], -1
                                        ; implicit-def: $vgpr2
.LBB14_1483:
	s_and_b64 vcc, exec, s[2:3]
	s_cbranch_vccz .LBB14_1485
; %bb.1484:
	global_load_ubyte v0, v[6:7], off
	s_mov_b32 s2, 0x7f800000
	s_waitcnt vmcnt(0)
	v_lshlrev_b32_e32 v0, 24, v0
	v_and_b32_e32 v2, 0x7f000000, v0
	v_ffbh_u32_e32 v4, v2
	v_min_u32_e32 v4, 32, v4
	v_sub_u32_e64 v4, v4, 4 clamp
	v_lshlrev_b32_e32 v10, v4, v2
	v_lshlrev_b32_e32 v4, 23, v4
	v_lshrrev_b32_e32 v10, 4, v10
	v_add_u32_e32 v9, 0x1000000, v2
	v_sub_u32_e32 v4, v10, v4
	v_ashrrev_i32_e32 v9, 8, v9
	v_add_u32_e32 v4, 0x3c000000, v4
	v_and_or_b32 v4, v9, s2, v4
	v_cmp_ne_u32_e32 vcc, 0, v2
	v_cndmask_b32_e32 v2, 0, v4, vcc
	s_brev_b32 s2, 1
	v_and_or_b32 v2, v0, s2, v2
.LBB14_1485:
	s_mov_b64 s[2:3], 0
.LBB14_1486:
	s_andn2_b64 vcc, exec, s[2:3]
	s_cbranch_vccnz .LBB14_1488
; %bb.1487:
	global_load_ubyte v0, v[6:7], off
	s_movk_i32 s2, 0x7f00
	s_brev_b32 s3, 16
	s_waitcnt vmcnt(0)
	v_lshlrev_b16_e32 v2, 8, v0
	v_lshlrev_b32_e32 v0, 25, v0
	v_lshrrev_b32_e32 v4, 4, v0
	v_and_or_b32 v9, v2, s2, 0.5
	v_or_b32_e32 v4, 0x70000000, v4
	v_add_f32_e32 v9, -0.5, v9
	v_mul_f32_e32 v4, 0x7800000, v4
	v_cmp_gt_u32_e32 vcc, s3, v0
	v_bfe_i32 v2, v2, 0, 16
	v_cndmask_b32_e32 v0, v4, v9, vcc
	s_brev_b32 s2, 1
	v_and_or_b32 v2, v2, s2, v0
.LBB14_1488:
	s_mov_b64 s[2:3], 0
	s_mov_b64 s[10:11], -1
.LBB14_1489:
	s_andn2_b64 vcc, exec, s[2:3]
	s_mov_b64 s[2:3], 0
	s_cbranch_vccnz .LBB14_1500
; %bb.1490:
	s_cmp_gt_i32 s15, 14
	s_cbranch_scc0 .LBB14_1493
; %bb.1491:
	s_cmp_eq_u32 s15, 15
	s_cbranch_scc0 .LBB14_1496
; %bb.1492:
	global_load_ushort v0, v[6:7], off
	s_mov_b64 s[0:1], 0
	s_mov_b64 s[10:11], -1
	s_waitcnt vmcnt(0)
	v_lshlrev_b32_e32 v2, 16, v0
	s_branch .LBB14_1497
.LBB14_1493:
	s_mov_b64 s[18:19], -1
                                        ; implicit-def: $vgpr2
	s_branch .LBB14_1498
.LBB14_1494:
	s_or_saveexec_b64 s[10:11], s[10:11]
	v_mov_b32_e32 v2, 0x7f800001
	s_xor_b64 exec, exec, s[10:11]
	s_cbranch_execz .LBB14_1475
.LBB14_1495:
	v_cmp_ne_u16_e32 vcc, 0, v0
	s_andn2_b64 s[2:3], s[2:3], exec
	s_and_b64 s[18:19], vcc, exec
	v_mov_b32_e32 v2, 0
	s_or_b64 s[2:3], s[2:3], s[18:19]
	s_or_b64 exec, exec, s[10:11]
	s_and_saveexec_b64 s[10:11], s[2:3]
	s_cbranch_execnz .LBB14_1476
	s_branch .LBB14_1477
.LBB14_1496:
	s_mov_b64 s[0:1], -1
                                        ; implicit-def: $vgpr2
.LBB14_1497:
	s_mov_b64 s[18:19], 0
.LBB14_1498:
	s_and_b64 vcc, exec, s[18:19]
	s_cbranch_vccz .LBB14_1500
; %bb.1499:
	s_cmp_lg_u32 s15, 11
	s_mov_b64 s[2:3], -1
	s_cselect_b64 s[0:1], -1, 0
.LBB14_1500:
	s_and_b64 vcc, exec, s[0:1]
	s_cbranch_vccnz .LBB14_2037
; %bb.1501:
	s_andn2_b64 vcc, exec, s[2:3]
	s_cbranch_vccnz .LBB14_1503
.LBB14_1502:
	global_load_ubyte v0, v[6:7], off
	s_mov_b64 s[10:11], -1
	s_waitcnt vmcnt(0)
	v_cmp_ne_u16_e32 vcc, 0, v0
	v_cndmask_b32_e64 v2, 0, 1.0, vcc
.LBB14_1503:
	s_mov_b64 s[0:1], 0
.LBB14_1504:
	s_and_b64 vcc, exec, s[0:1]
	s_cbranch_vccz .LBB14_1553
; %bb.1505:
	s_cmp_lt_i32 s15, 5
	s_cbranch_scc1 .LBB14_1510
; %bb.1506:
	s_cmp_lt_i32 s15, 8
	s_cbranch_scc1 .LBB14_1511
	;; [unrolled: 3-line block ×3, first 2 shown]
; %bb.1508:
	s_cmp_gt_i32 s15, 9
	s_cbranch_scc0 .LBB14_1513
; %bb.1509:
	global_load_dwordx2 v[9:10], v[6:7], off
	s_mov_b64 s[0:1], 0
	s_waitcnt vmcnt(0)
	v_cvt_f32_f64_e32 v2, v[9:10]
	s_branch .LBB14_1514
.LBB14_1510:
	s_mov_b64 s[0:1], -1
                                        ; implicit-def: $vgpr2
	s_branch .LBB14_1532
.LBB14_1511:
	s_mov_b64 s[0:1], -1
                                        ; implicit-def: $vgpr2
	s_branch .LBB14_1520
.LBB14_1512:
	s_mov_b64 s[0:1], -1
                                        ; implicit-def: $vgpr2
	s_branch .LBB14_1517
.LBB14_1513:
	s_mov_b64 s[0:1], -1
                                        ; implicit-def: $vgpr2
.LBB14_1514:
	s_andn2_b64 vcc, exec, s[0:1]
	s_cbranch_vccnz .LBB14_1516
; %bb.1515:
	global_load_dword v2, v[6:7], off
.LBB14_1516:
	s_mov_b64 s[0:1], 0
.LBB14_1517:
	s_andn2_b64 vcc, exec, s[0:1]
	s_cbranch_vccnz .LBB14_1519
; %bb.1518:
	global_load_dword v0, v[6:7], off
	s_waitcnt vmcnt(0)
	v_cvt_f32_f16_e32 v2, v0
.LBB14_1519:
	s_mov_b64 s[0:1], 0
.LBB14_1520:
	s_andn2_b64 vcc, exec, s[0:1]
	s_cbranch_vccnz .LBB14_1531
; %bb.1521:
	s_cmp_lt_i32 s15, 6
	s_cbranch_scc1 .LBB14_1524
; %bb.1522:
	s_cmp_gt_i32 s15, 6
	s_cbranch_scc0 .LBB14_1525
; %bb.1523:
	global_load_dwordx2 v[9:10], v[6:7], off
	s_mov_b64 s[0:1], 0
	s_waitcnt vmcnt(0)
	v_cvt_f32_f64_e32 v2, v[9:10]
	s_branch .LBB14_1526
.LBB14_1524:
	s_mov_b64 s[0:1], -1
                                        ; implicit-def: $vgpr2
	s_branch .LBB14_1529
.LBB14_1525:
	s_mov_b64 s[0:1], -1
                                        ; implicit-def: $vgpr2
.LBB14_1526:
	s_andn2_b64 vcc, exec, s[0:1]
	s_cbranch_vccnz .LBB14_1528
; %bb.1527:
	global_load_dword v2, v[6:7], off
.LBB14_1528:
	s_mov_b64 s[0:1], 0
.LBB14_1529:
	s_andn2_b64 vcc, exec, s[0:1]
	s_cbranch_vccnz .LBB14_1531
; %bb.1530:
	global_load_ushort v0, v[6:7], off
	s_waitcnt vmcnt(0)
	v_cvt_f32_f16_e32 v2, v0
.LBB14_1531:
	s_mov_b64 s[0:1], 0
.LBB14_1532:
	s_andn2_b64 vcc, exec, s[0:1]
	s_cbranch_vccnz .LBB14_1552
; %bb.1533:
	s_cmp_lt_i32 s15, 2
	s_cbranch_scc1 .LBB14_1537
; %bb.1534:
	s_cmp_lt_i32 s15, 3
	s_cbranch_scc1 .LBB14_1538
; %bb.1535:
	s_cmp_gt_i32 s15, 3
	s_cbranch_scc0 .LBB14_1539
; %bb.1536:
	global_load_dwordx2 v[9:10], v[6:7], off
	s_mov_b64 s[0:1], 0
	s_waitcnt vmcnt(0)
	v_xor_b32_e32 v2, v9, v10
	v_ffbh_i32_e32 v0, v10
	v_ashrrev_i32_e32 v2, 31, v2
	v_add_u32_e32 v0, -1, v0
	v_add_u32_e32 v2, 32, v2
	v_min_u32_e32 v0, v0, v2
	v_lshlrev_b64 v[9:10], v0, v[9:10]
	v_sub_u32_e32 v0, 32, v0
	v_min_u32_e32 v2, 1, v9
	v_or_b32_e32 v2, v10, v2
	v_cvt_f32_i32_e32 v2, v2
	v_ldexp_f32 v2, v2, v0
	s_branch .LBB14_1540
.LBB14_1537:
	s_mov_b64 s[0:1], -1
                                        ; implicit-def: $vgpr2
	s_branch .LBB14_1546
.LBB14_1538:
	s_mov_b64 s[0:1], -1
                                        ; implicit-def: $vgpr2
	s_branch .LBB14_1543
.LBB14_1539:
	s_mov_b64 s[0:1], -1
                                        ; implicit-def: $vgpr2
.LBB14_1540:
	s_andn2_b64 vcc, exec, s[0:1]
	s_cbranch_vccnz .LBB14_1542
; %bb.1541:
	global_load_dword v0, v[6:7], off
	s_waitcnt vmcnt(0)
	v_cvt_f32_i32_e32 v2, v0
.LBB14_1542:
	s_mov_b64 s[0:1], 0
.LBB14_1543:
	s_andn2_b64 vcc, exec, s[0:1]
	s_cbranch_vccnz .LBB14_1545
; %bb.1544:
	global_load_sshort v0, v[6:7], off
	s_waitcnt vmcnt(0)
	v_cvt_f32_i32_e32 v2, v0
.LBB14_1545:
	s_mov_b64 s[0:1], 0
.LBB14_1546:
	s_andn2_b64 vcc, exec, s[0:1]
	s_cbranch_vccnz .LBB14_1552
; %bb.1547:
	s_cmp_gt_i32 s15, 0
	s_cbranch_scc0 .LBB14_1549
; %bb.1548:
	global_load_sbyte v0, v[6:7], off
	s_mov_b64 s[0:1], 0
	s_waitcnt vmcnt(0)
	v_cvt_f32_i32_e32 v2, v0
	s_branch .LBB14_1550
.LBB14_1549:
	s_mov_b64 s[0:1], -1
                                        ; implicit-def: $vgpr2
.LBB14_1550:
	s_andn2_b64 vcc, exec, s[0:1]
	s_cbranch_vccnz .LBB14_1552
; %bb.1551:
	global_load_ubyte v0, v[6:7], off
	s_waitcnt vmcnt(0)
	v_cvt_f32_ubyte0_e32 v2, v0
.LBB14_1552:
	s_mov_b64 s[10:11], -1
.LBB14_1553:
	s_andn2_b64 vcc, exec, s[10:11]
	s_cbranch_vccnz .LBB14_1634
; %bb.1554:
	s_waitcnt vmcnt(0)
	v_cmp_lt_f32_e32 vcc, s14, v2
	v_mov_b32_e32 v0, 1.0
	s_and_saveexec_b64 s[0:1], vcc
	s_cbranch_execz .LBB14_1556
; %bb.1555:
	v_add_f32_e32 v0, 0x33d6bf95, v2
	v_div_scale_f32 v2, s[2:3], v0, v0, s14
	v_div_scale_f32 v4, vcc, s14, v0, s14
	v_rcp_f32_e32 v6, v2
	v_fma_f32 v7, -v2, v6, 1.0
	v_fmac_f32_e32 v6, v7, v6
	v_mul_f32_e32 v7, v4, v6
	v_fma_f32 v9, -v2, v7, v4
	v_fmac_f32_e32 v7, v9, v6
	v_fma_f32 v2, -v2, v7, v4
	v_div_fmas_f32 v2, v2, v6, v7
	v_div_fixup_f32 v0, v2, v0, s14
.LBB14_1556:
	s_or_b64 exec, exec, s[0:1]
	v_mul_lo_u32 v4, s12, v8
	v_mov_b32_e32 v2, s9
	s_and_b32 s20, s33, 0xff
	s_cmp_lt_i32 s20, 11
	v_ashrrev_i32_e32 v7, 31, v4
	v_add_co_u32_e32 v6, vcc, s8, v4
	v_addc_co_u32_e32 v7, vcc, v2, v7, vcc
	s_cbranch_scc1 .LBB14_1680
; %bb.1557:
	s_and_b32 s13, 0xffff, s20
	s_mov_b64 s[14:15], -1
	s_mov_b64 s[2:3], 0
	s_cmp_gt_i32 s13, 25
	s_mov_b64 s[10:11], 0
	s_mov_b64 s[0:1], 0
	s_cbranch_scc0 .LBB14_1590
; %bb.1558:
	s_cmp_gt_i32 s13, 28
	s_cbranch_scc0 .LBB14_1573
; %bb.1559:
	s_cmp_gt_i32 s13, 43
	;; [unrolled: 3-line block ×3, first 2 shown]
	s_cbranch_scc0 .LBB14_1563
; %bb.1561:
	s_mov_b64 s[0:1], -1
	s_mov_b64 s[14:15], 0
	s_cmp_eq_u32 s13, 46
	s_cbranch_scc0 .LBB14_1563
; %bb.1562:
	v_bfe_u32 v2, v1, 16, 1
	s_movk_i32 s0, 0x7fff
	v_add3_u32 v2, v1, v2, s0
	v_cmp_o_f32_e32 vcc, v1, v1
	v_mov_b32_e32 v8, 0x7fc0
	v_cndmask_b32_sdwa v2, v8, v2, vcc dst_sel:DWORD dst_unused:UNUSED_PAD src0_sel:DWORD src1_sel:WORD_1
	global_store_dword v[6:7], v2, off
	s_mov_b64 s[0:1], 0
	s_mov_b64 s[10:11], -1
.LBB14_1563:
	s_and_b64 vcc, exec, s[14:15]
	s_cbranch_vccz .LBB14_1568
; %bb.1564:
	s_cmp_eq_u32 s13, 44
	s_mov_b64 s[0:1], -1
	s_cbranch_scc0 .LBB14_1568
; %bb.1565:
	v_bfe_u32 v2, v1, 23, 8
	s_movk_i32 s0, 0xff
	v_cmp_ne_u32_e32 vcc, s0, v2
	v_mov_b32_e32 v8, 0xff
	s_and_saveexec_b64 s[10:11], vcc
; %bb.1566:
	s_mov_b32 s0, 0x3fffff
	v_and_b32_e32 v9, 0x400000, v1
	v_and_or_b32 v2, v1, s0, v2
	v_cmp_ne_u32_e32 vcc, 0, v9
	v_cmp_ne_u32_e64 s[0:1], 0, v2
	s_and_b64 s[0:1], vcc, s[0:1]
	v_lshrrev_b32_e32 v8, 23, v1
	v_cndmask_b32_e64 v2, 0, 1, s[0:1]
	v_add_u32_e32 v8, v8, v2
; %bb.1567:
	s_or_b64 exec, exec, s[10:11]
	s_mov_b64 s[0:1], 0
	s_mov_b64 s[10:11], -1
	global_store_byte v[6:7], v8, off
.LBB14_1568:
	s_mov_b64 s[14:15], 0
.LBB14_1569:
	s_and_b64 vcc, exec, s[14:15]
	s_cbranch_vccz .LBB14_1572
; %bb.1570:
	s_cmp_eq_u32 s13, 29
	s_mov_b64 s[0:1], -1
	s_cbranch_scc0 .LBB14_1572
; %bb.1571:
	v_trunc_f32_e32 v2, v1
	v_mul_f32_e32 v8, 0x2f800000, v2
	v_floor_f32_e32 v8, v8
	v_fmac_f32_e32 v2, 0xcf800000, v8
	v_cvt_u32_f32_e32 v9, v8
	v_cvt_u32_f32_e32 v8, v2
	s_mov_b64 s[0:1], 0
	s_mov_b64 s[10:11], -1
	global_store_dwordx2 v[6:7], v[8:9], off
.LBB14_1572:
	s_mov_b64 s[14:15], 0
.LBB14_1573:
	s_and_b64 vcc, exec, s[14:15]
	s_cbranch_vccz .LBB14_1589
; %bb.1574:
	s_cmp_lt_i32 s13, 27
	s_mov_b64 s[10:11], -1
	s_cbranch_scc1 .LBB14_1580
; %bb.1575:
	v_cvt_u32_f32_e32 v2, v1
	s_cmp_gt_i32 s13, 27
	s_cbranch_scc0 .LBB14_1577
; %bb.1576:
	s_mov_b64 s[10:11], 0
	global_store_dword v[6:7], v2, off
.LBB14_1577:
	s_andn2_b64 vcc, exec, s[10:11]
	s_cbranch_vccnz .LBB14_1579
; %bb.1578:
	global_store_short v[6:7], v2, off
.LBB14_1579:
	s_mov_b64 s[10:11], 0
.LBB14_1580:
	s_andn2_b64 vcc, exec, s[10:11]
	s_cbranch_vccnz .LBB14_1588
; %bb.1581:
	v_and_b32_e32 v2, 0x7fffffff, v1
	s_mov_b32 s10, 0x43800000
	v_cmp_gt_u32_e32 vcc, s10, v2
	v_mov_b32_e32 v8, 0x80
	s_and_saveexec_b64 s[10:11], vcc
	s_cbranch_execz .LBB14_1587
; %bb.1582:
	s_mov_b32 s14, 0x3bffffff
	v_cmp_lt_u32_e32 vcc, s14, v2
	s_mov_b64 s[14:15], 0
                                        ; implicit-def: $vgpr2
	s_and_saveexec_b64 s[18:19], vcc
	s_xor_b64 s[18:19], exec, s[18:19]
	s_cbranch_execz .LBB14_2038
; %bb.1583:
	v_bfe_u32 v2, v1, 20, 1
	s_mov_b32 s21, 0x487ffff
	v_add3_u32 v2, v1, v2, s21
	s_mov_b64 s[14:15], exec
	v_lshrrev_b32_e32 v2, 20, v2
	s_andn2_saveexec_b64 s[18:19], s[18:19]
	s_cbranch_execnz .LBB14_2039
.LBB14_1584:
	s_or_b64 exec, exec, s[18:19]
	v_mov_b32_e32 v8, 0
	s_and_saveexec_b64 s[18:19], s[14:15]
.LBB14_1585:
	v_lshrrev_b32_e32 v8, 24, v1
	s_movk_i32 s14, 0x80
	v_and_or_b32 v8, v8, s14, v2
.LBB14_1586:
	s_or_b64 exec, exec, s[18:19]
.LBB14_1587:
	s_or_b64 exec, exec, s[10:11]
	global_store_byte v[6:7], v8, off
.LBB14_1588:
	s_mov_b64 s[10:11], -1
.LBB14_1589:
	s_mov_b64 s[14:15], 0
.LBB14_1590:
	s_and_b64 vcc, exec, s[14:15]
	s_cbranch_vccz .LBB14_1630
; %bb.1591:
	s_cmp_gt_i32 s13, 22
	s_mov_b64 s[2:3], -1
	s_cbranch_scc0 .LBB14_1623
; %bb.1592:
	s_cmp_lt_i32 s13, 24
	s_cbranch_scc1 .LBB14_1612
; %bb.1593:
	s_cmp_gt_i32 s13, 24
	s_cbranch_scc0 .LBB14_1601
; %bb.1594:
	v_and_b32_e32 v2, 0x7fffffff, v1
	s_mov_b32 s2, 0x47800000
	v_cmp_gt_u32_e32 vcc, s2, v2
	v_mov_b32_e32 v8, 0x80
	s_and_saveexec_b64 s[2:3], vcc
	s_cbranch_execz .LBB14_1600
; %bb.1595:
	s_mov_b32 s10, 0x37ffffff
	v_cmp_lt_u32_e32 vcc, s10, v2
	s_mov_b64 s[10:11], 0
                                        ; implicit-def: $vgpr2
	s_and_saveexec_b64 s[14:15], vcc
	s_xor_b64 s[14:15], exec, s[14:15]
	s_cbranch_execz .LBB14_2041
; %bb.1596:
	v_bfe_u32 v2, v1, 21, 1
	s_mov_b32 s18, 0x88fffff
	v_add3_u32 v2, v1, v2, s18
	s_mov_b64 s[10:11], exec
	v_lshrrev_b32_e32 v2, 21, v2
	s_andn2_saveexec_b64 s[14:15], s[14:15]
	s_cbranch_execnz .LBB14_2042
.LBB14_1597:
	s_or_b64 exec, exec, s[14:15]
	v_mov_b32_e32 v8, 0
	s_and_saveexec_b64 s[14:15], s[10:11]
.LBB14_1598:
	v_lshrrev_b32_e32 v8, 24, v1
	s_movk_i32 s10, 0x80
	v_and_or_b32 v8, v8, s10, v2
.LBB14_1599:
	s_or_b64 exec, exec, s[14:15]
.LBB14_1600:
	s_or_b64 exec, exec, s[2:3]
	s_mov_b64 s[2:3], 0
	global_store_byte v[6:7], v8, off
.LBB14_1601:
	s_and_b64 vcc, exec, s[2:3]
	s_cbranch_vccz .LBB14_1611
; %bb.1602:
	v_and_b32_e32 v8, 0x7fffffff, v1
	s_mov_b32 s2, 0x43f00000
	v_cmp_gt_u32_e32 vcc, s2, v8
                                        ; implicit-def: $vgpr2
	s_and_saveexec_b64 s[2:3], vcc
	s_xor_b64 s[2:3], exec, s[2:3]
	s_cbranch_execz .LBB14_1608
; %bb.1603:
	s_mov_b32 s10, 0x3c7fffff
	v_cmp_lt_u32_e32 vcc, s10, v8
                                        ; implicit-def: $vgpr2
	s_and_saveexec_b64 s[10:11], vcc
	s_xor_b64 s[10:11], exec, s[10:11]
; %bb.1604:
	v_bfe_u32 v2, v1, 20, 1
	s_mov_b32 s14, 0x407ffff
	v_add3_u32 v2, v1, v2, s14
	v_lshrrev_b32_e32 v8, 20, v2
	v_and_b32_e32 v2, 0xff00000, v2
	s_mov_b32 s14, 0x7f00000
	v_mov_b32_e32 v9, 0x7e
	v_cmp_ne_u32_e32 vcc, s14, v2
	v_cndmask_b32_e32 v2, v9, v8, vcc
; %bb.1605:
	s_andn2_saveexec_b64 s[10:11], s[10:11]
; %bb.1606:
	s_mov_b32 s14, 0x46800000
	v_add_f32_e64 v2, |v1|, s14
; %bb.1607:
	s_or_b64 exec, exec, s[10:11]
                                        ; implicit-def: $vgpr8
.LBB14_1608:
	s_andn2_saveexec_b64 s[2:3], s[2:3]
; %bb.1609:
	s_mov_b32 s10, 0x7f800000
	v_mov_b32_e32 v2, 0x7e
	v_mov_b32_e32 v9, 0x7f
	v_cmp_lt_u32_e32 vcc, s10, v8
	v_cndmask_b32_e32 v2, v2, v9, vcc
; %bb.1610:
	s_or_b64 exec, exec, s[2:3]
	v_lshrrev_b32_e32 v8, 24, v1
	s_movk_i32 s2, 0x80
	v_and_or_b32 v2, v8, s2, v2
	global_store_byte v[6:7], v2, off
.LBB14_1611:
	s_mov_b64 s[2:3], 0
.LBB14_1612:
	s_andn2_b64 vcc, exec, s[2:3]
	s_cbranch_vccnz .LBB14_1622
; %bb.1613:
	v_and_b32_e32 v8, 0x7fffffff, v1
	s_mov_b32 s2, 0x47800000
	v_cmp_gt_u32_e32 vcc, s2, v8
                                        ; implicit-def: $vgpr2
	s_and_saveexec_b64 s[2:3], vcc
	s_xor_b64 s[2:3], exec, s[2:3]
	s_cbranch_execz .LBB14_1619
; %bb.1614:
	s_mov_b32 s10, 0x387fffff
	v_cmp_lt_u32_e32 vcc, s10, v8
                                        ; implicit-def: $vgpr2
	s_and_saveexec_b64 s[10:11], vcc
	s_xor_b64 s[10:11], exec, s[10:11]
; %bb.1615:
	v_bfe_u32 v2, v1, 21, 1
	s_mov_b32 s14, 0x80fffff
	v_add3_u32 v2, v1, v2, s14
	v_lshrrev_b32_e32 v2, 21, v2
; %bb.1616:
	s_andn2_saveexec_b64 s[10:11], s[10:11]
; %bb.1617:
	s_mov_b32 s14, 0x43000000
	v_add_f32_e64 v2, |v1|, s14
; %bb.1618:
	s_or_b64 exec, exec, s[10:11]
                                        ; implicit-def: $vgpr8
.LBB14_1619:
	s_andn2_saveexec_b64 s[2:3], s[2:3]
; %bb.1620:
	s_mov_b32 s10, 0x7f800000
	v_mov_b32_e32 v2, 0x7c
	v_mov_b32_e32 v9, 0x7f
	v_cmp_lt_u32_e32 vcc, s10, v8
	v_cndmask_b32_e32 v2, v2, v9, vcc
; %bb.1621:
	s_or_b64 exec, exec, s[2:3]
	v_lshrrev_b32_e32 v8, 24, v1
	s_movk_i32 s2, 0x80
	v_and_or_b32 v2, v8, s2, v2
	global_store_byte v[6:7], v2, off
.LBB14_1622:
	s_mov_b64 s[2:3], 0
	s_mov_b64 s[10:11], -1
.LBB14_1623:
	s_andn2_b64 vcc, exec, s[2:3]
	s_mov_b64 s[2:3], 0
	s_cbranch_vccnz .LBB14_1630
; %bb.1624:
	s_cmp_gt_i32 s13, 14
	s_mov_b64 s[14:15], -1
	s_cbranch_scc0 .LBB14_1628
; %bb.1625:
	s_cmp_eq_u32 s13, 15
	s_mov_b64 s[0:1], -1
	s_cbranch_scc0 .LBB14_1627
; %bb.1626:
	v_bfe_u32 v2, v1, 16, 1
	s_movk_i32 s0, 0x7fff
	v_add3_u32 v2, v1, v2, s0
	v_cmp_o_f32_e32 vcc, v1, v1
	v_mov_b32_e32 v8, 0x7fc0
	v_cndmask_b32_sdwa v2, v8, v2, vcc dst_sel:DWORD dst_unused:UNUSED_PAD src0_sel:DWORD src1_sel:WORD_1
	global_store_short v[6:7], v2, off
	s_mov_b64 s[0:1], 0
	s_mov_b64 s[10:11], -1
.LBB14_1627:
	s_mov_b64 s[14:15], 0
.LBB14_1628:
	s_and_b64 vcc, exec, s[14:15]
	s_cbranch_vccz .LBB14_1630
; %bb.1629:
	s_cmp_lg_u32 s13, 11
	s_mov_b64 s[2:3], -1
	s_cselect_b64 s[0:1], -1, 0
.LBB14_1630:
	s_and_b64 vcc, exec, s[0:1]
	s_cbranch_vccnz .LBB14_2040
; %bb.1631:
	s_andn2_b64 vcc, exec, s[2:3]
	s_cbranch_vccnz .LBB14_1633
.LBB14_1632:
	v_cmp_neq_f32_e32 vcc, 0, v1
	v_cndmask_b32_e64 v2, 0, 1, vcc
	s_mov_b64 s[10:11], -1
	global_store_byte v[6:7], v2, off
.LBB14_1633:
	s_mov_b64 s[0:1], 0
	s_branch .LBB14_1681
.LBB14_1634:
	s_mov_b64 s[0:1], 0
                                        ; implicit-def: $sgpr20
                                        ; implicit-def: $vgpr2_vgpr3
                                        ; implicit-def: $vgpr0
.LBB14_1635:
	s_mov_b64 s[2:3], 0
.LBB14_1636:
	s_andn2_b64 s[6:7], s[6:7], exec
	s_and_b64 s[8:9], s[16:17], exec
	s_and_b64 s[0:1], s[0:1], exec
	;; [unrolled: 1-line block ×3, first 2 shown]
	s_or_b64 s[6:7], s[6:7], s[8:9]
.LBB14_1637:
	s_or_b64 exec, exec, s[4:5]
	s_and_saveexec_b64 s[4:5], s[6:7]
	s_cbranch_execz .LBB14_1640
; %bb.1638:
	; divergent unreachable
	s_or_b64 exec, exec, s[4:5]
	s_and_saveexec_b64 s[4:5], s[2:3]
	s_xor_b64 s[2:3], exec, s[4:5]
	s_cbranch_execnz .LBB14_1641
.LBB14_1639:
	s_or_b64 exec, exec, s[2:3]
	s_and_saveexec_b64 s[2:3], s[0:1]
	s_cbranch_execnz .LBB14_1642
	s_branch .LBB14_1679
.LBB14_1640:
	s_or_b64 exec, exec, s[4:5]
	s_and_saveexec_b64 s[4:5], s[2:3]
	s_xor_b64 s[2:3], exec, s[4:5]
	s_cbranch_execz .LBB14_1639
.LBB14_1641:
	v_cmp_neq_f32_e32 vcc, 0, v0
	v_cndmask_b32_e64 v1, 0, 1, vcc
	s_waitcnt vmcnt(0)
	global_store_byte v[2:3], v1, off
	s_or_b64 exec, exec, s[2:3]
	s_and_saveexec_b64 s[2:3], s[0:1]
	s_cbranch_execz .LBB14_1679
.LBB14_1642:
	s_sext_i32_i16 s2, s20
	s_cmp_lt_i32 s2, 5
	s_mov_b64 s[0:1], -1
	s_cbranch_scc1 .LBB14_1663
; %bb.1643:
	s_cmp_lt_i32 s2, 8
	s_cbranch_scc1 .LBB14_1653
; %bb.1644:
	s_cmp_lt_i32 s2, 9
	s_cbranch_scc1 .LBB14_1650
; %bb.1645:
	s_cmp_gt_i32 s2, 9
	s_cbranch_scc0 .LBB14_1647
; %bb.1646:
	s_waitcnt vmcnt(0)
	v_cvt_f64_f32_e32 v[4:5], v0
	v_mov_b32_e32 v6, 0
	v_mov_b32_e32 v7, v6
	s_mov_b64 s[0:1], 0
	global_store_dwordx4 v[2:3], v[4:7], off
.LBB14_1647:
	s_andn2_b64 vcc, exec, s[0:1]
	s_cbranch_vccnz .LBB14_1649
; %bb.1648:
	v_mov_b32_e32 v1, 0
	s_waitcnt vmcnt(0)
	global_store_dwordx2 v[2:3], v[0:1], off
.LBB14_1649:
	s_mov_b64 s[0:1], 0
.LBB14_1650:
	s_andn2_b64 vcc, exec, s[0:1]
	s_cbranch_vccnz .LBB14_1652
; %bb.1651:
	v_cvt_f16_f32_e32 v1, v0
	s_waitcnt vmcnt(0)
	global_store_dword v[2:3], v1, off
.LBB14_1652:
	s_mov_b64 s[0:1], 0
.LBB14_1653:
	s_andn2_b64 vcc, exec, s[0:1]
	s_cbranch_vccnz .LBB14_1662
; %bb.1654:
	s_sext_i32_i16 s2, s20
	s_cmp_lt_i32 s2, 6
	s_mov_b64 s[0:1], -1
	s_cbranch_scc1 .LBB14_1660
; %bb.1655:
	s_cmp_gt_i32 s2, 6
	s_cbranch_scc0 .LBB14_1657
; %bb.1656:
	s_waitcnt vmcnt(0)
	v_cvt_f64_f32_e32 v[4:5], v0
	s_mov_b64 s[0:1], 0
	global_store_dwordx2 v[2:3], v[4:5], off
.LBB14_1657:
	s_andn2_b64 vcc, exec, s[0:1]
	s_cbranch_vccnz .LBB14_1659
; %bb.1658:
	s_waitcnt vmcnt(0)
	global_store_dword v[2:3], v0, off
.LBB14_1659:
	s_mov_b64 s[0:1], 0
.LBB14_1660:
	s_andn2_b64 vcc, exec, s[0:1]
	s_cbranch_vccnz .LBB14_1662
; %bb.1661:
	v_cvt_f16_f32_e32 v1, v0
	s_waitcnt vmcnt(0)
	global_store_short v[2:3], v1, off
.LBB14_1662:
	s_mov_b64 s[0:1], 0
.LBB14_1663:
	s_andn2_b64 vcc, exec, s[0:1]
	s_cbranch_vccnz .LBB14_1679
; %bb.1664:
	s_sext_i32_i16 s2, s20
	s_cmp_lt_i32 s2, 2
	s_mov_b64 s[0:1], -1
	s_cbranch_scc1 .LBB14_1674
; %bb.1665:
	s_cmp_lt_i32 s2, 3
	s_cbranch_scc1 .LBB14_1671
; %bb.1666:
	s_cmp_gt_i32 s2, 3
	s_cbranch_scc0 .LBB14_1668
; %bb.1667:
	v_trunc_f32_e32 v1, v0
	s_mov_b32 s0, 0x2f800000
	s_waitcnt vmcnt(0)
	v_mul_f32_e64 v4, |v1|, s0
	v_floor_f32_e32 v4, v4
	s_mov_b32 s0, 0xcf800000
	v_cvt_u32_f32_e32 v5, v4
	v_fma_f32 v4, v4, s0, |v1|
	v_cvt_u32_f32_e32 v4, v4
	v_ashrrev_i32_e32 v1, 31, v1
	v_xor_b32_e32 v5, v5, v1
	s_mov_b64 s[0:1], 0
	v_xor_b32_e32 v4, v4, v1
	v_sub_co_u32_e32 v4, vcc, v4, v1
	v_subb_co_u32_e32 v5, vcc, v5, v1, vcc
	global_store_dwordx2 v[2:3], v[4:5], off
.LBB14_1668:
	s_andn2_b64 vcc, exec, s[0:1]
	s_cbranch_vccnz .LBB14_1670
; %bb.1669:
	v_cvt_i32_f32_e32 v1, v0
	s_waitcnt vmcnt(0)
	global_store_dword v[2:3], v1, off
.LBB14_1670:
	s_mov_b64 s[0:1], 0
.LBB14_1671:
	s_andn2_b64 vcc, exec, s[0:1]
	s_cbranch_vccnz .LBB14_1673
; %bb.1672:
	v_cvt_i32_f32_e32 v1, v0
	s_waitcnt vmcnt(0)
	global_store_short v[2:3], v1, off
.LBB14_1673:
	s_mov_b64 s[0:1], 0
.LBB14_1674:
	s_andn2_b64 vcc, exec, s[0:1]
	s_cbranch_vccnz .LBB14_1679
; %bb.1675:
	s_sext_i32_i16 s0, s20
	s_cmp_gt_i32 s0, 0
	s_mov_b64 s[0:1], -1
	s_cbranch_scc0 .LBB14_1677
; %bb.1676:
	v_cvt_i32_f32_e32 v1, v0
	s_mov_b64 s[0:1], 0
	s_waitcnt vmcnt(0)
	global_store_byte v[2:3], v1, off
.LBB14_1677:
	s_andn2_b64 vcc, exec, s[0:1]
	s_cbranch_vccnz .LBB14_1679
; %bb.1678:
	v_trunc_f32_e32 v0, v0
	s_mov_b32 s0, 0x2f800000
	v_mul_f32_e64 v1, |v0|, s0
	v_floor_f32_e32 v1, v1
	s_mov_b32 s0, 0xcf800000
	v_fma_f32 v1, v1, s0, |v0|
	v_cvt_u32_f32_e32 v1, v1
	v_ashrrev_i32_e32 v0, 31, v0
	v_xor_b32_e32 v1, v1, v0
	v_sub_u32_e32 v0, v1, v0
	s_waitcnt vmcnt(0)
	global_store_byte v[2:3], v0, off
	s_endpgm
.LBB14_1679:
	s_endpgm
.LBB14_1680:
	s_mov_b64 s[0:1], -1
	s_mov_b64 s[10:11], 0
.LBB14_1681:
	s_and_b64 vcc, exec, s[0:1]
	s_cbranch_vccz .LBB14_1720
; %bb.1682:
	s_and_b32 s2, 0xffff, s20
	s_cmp_lt_i32 s2, 5
	s_mov_b64 s[0:1], -1
	s_cbranch_scc1 .LBB14_1703
; %bb.1683:
	s_cmp_lt_i32 s2, 8
	s_cbranch_scc1 .LBB14_1693
; %bb.1684:
	s_cmp_lt_i32 s2, 9
	s_cbranch_scc1 .LBB14_1690
; %bb.1685:
	s_cmp_gt_i32 s2, 9
	s_cbranch_scc0 .LBB14_1687
; %bb.1686:
	v_cvt_f64_f32_e32 v[8:9], v1
	v_mov_b32_e32 v10, 0
	v_mov_b32_e32 v11, v10
	s_mov_b64 s[0:1], 0
	global_store_dwordx4 v[6:7], v[8:11], off
.LBB14_1687:
	s_andn2_b64 vcc, exec, s[0:1]
	s_cbranch_vccnz .LBB14_1689
; %bb.1688:
	v_mov_b32_e32 v2, 0
	global_store_dwordx2 v[6:7], v[1:2], off
.LBB14_1689:
	s_mov_b64 s[0:1], 0
.LBB14_1690:
	s_andn2_b64 vcc, exec, s[0:1]
	s_cbranch_vccnz .LBB14_1692
; %bb.1691:
	v_cvt_f16_f32_e32 v2, v1
	global_store_dword v[6:7], v2, off
.LBB14_1692:
	s_mov_b64 s[0:1], 0
.LBB14_1693:
	s_andn2_b64 vcc, exec, s[0:1]
	s_cbranch_vccnz .LBB14_1702
; %bb.1694:
	s_cmp_lt_i32 s2, 6
	s_mov_b64 s[0:1], -1
	s_cbranch_scc1 .LBB14_1700
; %bb.1695:
	s_cmp_gt_i32 s2, 6
	s_cbranch_scc0 .LBB14_1697
; %bb.1696:
	v_cvt_f64_f32_e32 v[8:9], v1
	s_mov_b64 s[0:1], 0
	global_store_dwordx2 v[6:7], v[8:9], off
.LBB14_1697:
	s_andn2_b64 vcc, exec, s[0:1]
	s_cbranch_vccnz .LBB14_1699
; %bb.1698:
	global_store_dword v[6:7], v1, off
.LBB14_1699:
	s_mov_b64 s[0:1], 0
.LBB14_1700:
	s_andn2_b64 vcc, exec, s[0:1]
	s_cbranch_vccnz .LBB14_1702
; %bb.1701:
	v_cvt_f16_f32_e32 v2, v1
	global_store_short v[6:7], v2, off
.LBB14_1702:
	s_mov_b64 s[0:1], 0
.LBB14_1703:
	s_andn2_b64 vcc, exec, s[0:1]
	s_cbranch_vccnz .LBB14_1719
; %bb.1704:
	s_cmp_lt_i32 s2, 2
	s_mov_b64 s[0:1], -1
	s_cbranch_scc1 .LBB14_1714
; %bb.1705:
	s_cmp_lt_i32 s2, 3
	s_cbranch_scc1 .LBB14_1711
; %bb.1706:
	s_cmp_gt_i32 s2, 3
	s_cbranch_scc0 .LBB14_1708
; %bb.1707:
	v_trunc_f32_e32 v2, v1
	s_mov_b32 s0, 0x2f800000
	v_mul_f32_e64 v8, |v2|, s0
	v_floor_f32_e32 v8, v8
	s_mov_b32 s0, 0xcf800000
	v_cvt_u32_f32_e32 v9, v8
	v_fma_f32 v8, v8, s0, |v2|
	v_cvt_u32_f32_e32 v8, v8
	v_ashrrev_i32_e32 v2, 31, v2
	v_xor_b32_e32 v9, v9, v2
	s_mov_b64 s[0:1], 0
	v_xor_b32_e32 v8, v8, v2
	v_sub_co_u32_e32 v8, vcc, v8, v2
	v_subb_co_u32_e32 v9, vcc, v9, v2, vcc
	global_store_dwordx2 v[6:7], v[8:9], off
.LBB14_1708:
	s_andn2_b64 vcc, exec, s[0:1]
	s_cbranch_vccnz .LBB14_1710
; %bb.1709:
	v_cvt_i32_f32_e32 v2, v1
	global_store_dword v[6:7], v2, off
.LBB14_1710:
	s_mov_b64 s[0:1], 0
.LBB14_1711:
	s_andn2_b64 vcc, exec, s[0:1]
	s_cbranch_vccnz .LBB14_1713
; %bb.1712:
	v_cvt_i32_f32_e32 v2, v1
	global_store_short v[6:7], v2, off
.LBB14_1713:
	s_mov_b64 s[0:1], 0
.LBB14_1714:
	s_andn2_b64 vcc, exec, s[0:1]
	s_cbranch_vccnz .LBB14_1719
; %bb.1715:
	s_cmp_gt_i32 s2, 0
	s_mov_b64 s[0:1], -1
	s_cbranch_scc0 .LBB14_1717
; %bb.1716:
	v_cvt_i32_f32_e32 v2, v1
	s_mov_b64 s[0:1], 0
	global_store_byte v[6:7], v2, off
.LBB14_1717:
	s_andn2_b64 vcc, exec, s[0:1]
	s_cbranch_vccnz .LBB14_1719
; %bb.1718:
	v_trunc_f32_e32 v1, v1
	s_mov_b32 s0, 0x2f800000
	v_mul_f32_e64 v2, |v1|, s0
	v_floor_f32_e32 v2, v2
	s_mov_b32 s0, 0xcf800000
	v_fma_f32 v2, v2, s0, |v1|
	v_cvt_u32_f32_e32 v2, v2
	v_ashrrev_i32_e32 v1, 31, v1
	v_xor_b32_e32 v2, v2, v1
	v_sub_u32_e32 v1, v2, v1
	global_store_byte v[6:7], v1, off
.LBB14_1719:
	s_mov_b64 s[10:11], -1
.LBB14_1720:
	s_andn2_b64 vcc, exec, s[10:11]
	s_cbranch_vccnz .LBB14_2035
; %bb.1721:
	s_lshl_b32 s18, s12, 7
	v_add_u32_e32 v6, s18, v4
	v_ashrrev_i32_e32 v2, 31, v6
	v_mov_b32_e32 v4, s9
	v_add_co_u32_e32 v1, vcc, s8, v6
	s_cmp_lt_i32 s20, 11
	v_addc_co_u32_e32 v2, vcc, v4, v2, vcc
	s_cbranch_scc1 .LBB14_1799
; %bb.1722:
	s_and_b32 s19, 0xffff, s20
	s_mov_b64 s[12:13], -1
	s_mov_b64 s[2:3], 0
	s_cmp_gt_i32 s19, 25
	s_mov_b64 s[10:11], 0
	s_mov_b64 s[0:1], 0
	s_cbranch_scc0 .LBB14_1755
; %bb.1723:
	s_cmp_gt_i32 s19, 28
	s_cbranch_scc0 .LBB14_1738
; %bb.1724:
	s_cmp_gt_i32 s19, 43
	;; [unrolled: 3-line block ×3, first 2 shown]
	s_cbranch_scc0 .LBB14_1728
; %bb.1726:
	s_mov_b64 s[0:1], -1
	s_mov_b64 s[12:13], 0
	s_cmp_eq_u32 s19, 46
	s_cbranch_scc0 .LBB14_1728
; %bb.1727:
	v_bfe_u32 v4, v3, 16, 1
	s_movk_i32 s0, 0x7fff
	v_add3_u32 v4, v3, v4, s0
	v_cmp_o_f32_e32 vcc, v3, v3
	v_mov_b32_e32 v7, 0x7fc0
	v_cndmask_b32_sdwa v4, v7, v4, vcc dst_sel:DWORD dst_unused:UNUSED_PAD src0_sel:DWORD src1_sel:WORD_1
	global_store_dword v[1:2], v4, off
	s_mov_b64 s[0:1], 0
	s_mov_b64 s[10:11], -1
.LBB14_1728:
	s_and_b64 vcc, exec, s[12:13]
	s_cbranch_vccz .LBB14_1733
; %bb.1729:
	s_cmp_eq_u32 s19, 44
	s_mov_b64 s[0:1], -1
	s_cbranch_scc0 .LBB14_1733
; %bb.1730:
	v_bfe_u32 v4, v3, 23, 8
	s_movk_i32 s0, 0xff
	v_cmp_ne_u32_e32 vcc, s0, v4
	v_mov_b32_e32 v7, 0xff
	s_and_saveexec_b64 s[10:11], vcc
; %bb.1731:
	s_mov_b32 s0, 0x3fffff
	v_and_b32_e32 v8, 0x400000, v3
	v_and_or_b32 v4, v3, s0, v4
	v_cmp_ne_u32_e32 vcc, 0, v8
	v_cmp_ne_u32_e64 s[0:1], 0, v4
	s_and_b64 s[0:1], vcc, s[0:1]
	v_lshrrev_b32_e32 v7, 23, v3
	v_cndmask_b32_e64 v4, 0, 1, s[0:1]
	v_add_u32_e32 v7, v7, v4
; %bb.1732:
	s_or_b64 exec, exec, s[10:11]
	s_mov_b64 s[0:1], 0
	s_mov_b64 s[10:11], -1
	global_store_byte v[1:2], v7, off
.LBB14_1733:
	s_mov_b64 s[12:13], 0
.LBB14_1734:
	s_and_b64 vcc, exec, s[12:13]
	s_cbranch_vccz .LBB14_1737
; %bb.1735:
	s_cmp_eq_u32 s19, 29
	s_mov_b64 s[0:1], -1
	s_cbranch_scc0 .LBB14_1737
; %bb.1736:
	v_trunc_f32_e32 v4, v3
	v_mul_f32_e32 v7, 0x2f800000, v4
	v_floor_f32_e32 v7, v7
	v_fmac_f32_e32 v4, 0xcf800000, v7
	v_cvt_u32_f32_e32 v8, v7
	v_cvt_u32_f32_e32 v7, v4
	s_mov_b64 s[0:1], 0
	s_mov_b64 s[10:11], -1
	global_store_dwordx2 v[1:2], v[7:8], off
.LBB14_1737:
	s_mov_b64 s[12:13], 0
.LBB14_1738:
	s_and_b64 vcc, exec, s[12:13]
	s_cbranch_vccz .LBB14_1754
; %bb.1739:
	s_cmp_lt_i32 s19, 27
	s_mov_b64 s[10:11], -1
	s_cbranch_scc1 .LBB14_1745
; %bb.1740:
	v_cvt_u32_f32_e32 v4, v3
	s_cmp_gt_i32 s19, 27
	s_cbranch_scc0 .LBB14_1742
; %bb.1741:
	s_mov_b64 s[10:11], 0
	global_store_dword v[1:2], v4, off
.LBB14_1742:
	s_andn2_b64 vcc, exec, s[10:11]
	s_cbranch_vccnz .LBB14_1744
; %bb.1743:
	global_store_short v[1:2], v4, off
.LBB14_1744:
	s_mov_b64 s[10:11], 0
.LBB14_1745:
	s_andn2_b64 vcc, exec, s[10:11]
	s_cbranch_vccnz .LBB14_1753
; %bb.1746:
	v_and_b32_e32 v4, 0x7fffffff, v3
	s_mov_b32 s10, 0x43800000
	v_cmp_gt_u32_e32 vcc, s10, v4
	v_mov_b32_e32 v7, 0x80
	s_and_saveexec_b64 s[10:11], vcc
	s_cbranch_execz .LBB14_1752
; %bb.1747:
	s_mov_b32 s12, 0x3bffffff
	v_cmp_lt_u32_e32 vcc, s12, v4
	s_mov_b64 s[12:13], 0
                                        ; implicit-def: $vgpr4
	s_and_saveexec_b64 s[14:15], vcc
	s_xor_b64 s[14:15], exec, s[14:15]
	s_cbranch_execz .LBB14_2043
; %bb.1748:
	v_bfe_u32 v4, v3, 20, 1
	s_mov_b32 s21, 0x487ffff
	v_add3_u32 v4, v3, v4, s21
	s_mov_b64 s[12:13], exec
	v_lshrrev_b32_e32 v4, 20, v4
	s_andn2_saveexec_b64 s[14:15], s[14:15]
	s_cbranch_execnz .LBB14_2044
.LBB14_1749:
	s_or_b64 exec, exec, s[14:15]
	v_mov_b32_e32 v7, 0
	s_and_saveexec_b64 s[14:15], s[12:13]
.LBB14_1750:
	v_lshrrev_b32_e32 v7, 24, v3
	s_movk_i32 s12, 0x80
	v_and_or_b32 v7, v7, s12, v4
.LBB14_1751:
	s_or_b64 exec, exec, s[14:15]
.LBB14_1752:
	s_or_b64 exec, exec, s[10:11]
	global_store_byte v[1:2], v7, off
.LBB14_1753:
	s_mov_b64 s[10:11], -1
.LBB14_1754:
	s_mov_b64 s[12:13], 0
.LBB14_1755:
	s_and_b64 vcc, exec, s[12:13]
	s_cbranch_vccz .LBB14_1795
; %bb.1756:
	s_cmp_gt_i32 s19, 22
	s_mov_b64 s[2:3], -1
	s_cbranch_scc0 .LBB14_1788
; %bb.1757:
	s_cmp_lt_i32 s19, 24
	s_cbranch_scc1 .LBB14_1777
; %bb.1758:
	s_cmp_gt_i32 s19, 24
	s_cbranch_scc0 .LBB14_1766
; %bb.1759:
	v_and_b32_e32 v4, 0x7fffffff, v3
	s_mov_b32 s2, 0x47800000
	v_cmp_gt_u32_e32 vcc, s2, v4
	v_mov_b32_e32 v7, 0x80
	s_and_saveexec_b64 s[2:3], vcc
	s_cbranch_execz .LBB14_1765
; %bb.1760:
	s_mov_b32 s10, 0x37ffffff
	v_cmp_lt_u32_e32 vcc, s10, v4
	s_mov_b64 s[10:11], 0
                                        ; implicit-def: $vgpr4
	s_and_saveexec_b64 s[12:13], vcc
	s_xor_b64 s[12:13], exec, s[12:13]
	s_cbranch_execz .LBB14_2046
; %bb.1761:
	v_bfe_u32 v4, v3, 21, 1
	s_mov_b32 s14, 0x88fffff
	v_add3_u32 v4, v3, v4, s14
	s_mov_b64 s[10:11], exec
	v_lshrrev_b32_e32 v4, 21, v4
	s_andn2_saveexec_b64 s[12:13], s[12:13]
	s_cbranch_execnz .LBB14_2047
.LBB14_1762:
	s_or_b64 exec, exec, s[12:13]
	v_mov_b32_e32 v7, 0
	s_and_saveexec_b64 s[12:13], s[10:11]
.LBB14_1763:
	v_lshrrev_b32_e32 v7, 24, v3
	s_movk_i32 s10, 0x80
	v_and_or_b32 v7, v7, s10, v4
.LBB14_1764:
	s_or_b64 exec, exec, s[12:13]
.LBB14_1765:
	s_or_b64 exec, exec, s[2:3]
	s_mov_b64 s[2:3], 0
	global_store_byte v[1:2], v7, off
.LBB14_1766:
	s_and_b64 vcc, exec, s[2:3]
	s_cbranch_vccz .LBB14_1776
; %bb.1767:
	v_and_b32_e32 v7, 0x7fffffff, v3
	s_mov_b32 s2, 0x43f00000
	v_cmp_gt_u32_e32 vcc, s2, v7
                                        ; implicit-def: $vgpr4
	s_and_saveexec_b64 s[2:3], vcc
	s_xor_b64 s[2:3], exec, s[2:3]
	s_cbranch_execz .LBB14_1773
; %bb.1768:
	s_mov_b32 s10, 0x3c7fffff
	v_cmp_lt_u32_e32 vcc, s10, v7
                                        ; implicit-def: $vgpr4
	s_and_saveexec_b64 s[10:11], vcc
	s_xor_b64 s[10:11], exec, s[10:11]
; %bb.1769:
	v_bfe_u32 v4, v3, 20, 1
	s_mov_b32 s12, 0x407ffff
	v_add3_u32 v4, v3, v4, s12
	v_lshrrev_b32_e32 v7, 20, v4
	v_and_b32_e32 v4, 0xff00000, v4
	s_mov_b32 s12, 0x7f00000
	v_mov_b32_e32 v8, 0x7e
	v_cmp_ne_u32_e32 vcc, s12, v4
	v_cndmask_b32_e32 v4, v8, v7, vcc
; %bb.1770:
	s_andn2_saveexec_b64 s[10:11], s[10:11]
; %bb.1771:
	s_mov_b32 s12, 0x46800000
	v_add_f32_e64 v4, |v3|, s12
; %bb.1772:
	s_or_b64 exec, exec, s[10:11]
                                        ; implicit-def: $vgpr7
.LBB14_1773:
	s_andn2_saveexec_b64 s[2:3], s[2:3]
; %bb.1774:
	s_mov_b32 s10, 0x7f800000
	v_mov_b32_e32 v4, 0x7e
	v_mov_b32_e32 v8, 0x7f
	v_cmp_lt_u32_e32 vcc, s10, v7
	v_cndmask_b32_e32 v4, v4, v8, vcc
; %bb.1775:
	s_or_b64 exec, exec, s[2:3]
	v_lshrrev_b32_e32 v7, 24, v3
	s_movk_i32 s2, 0x80
	v_and_or_b32 v4, v7, s2, v4
	global_store_byte v[1:2], v4, off
.LBB14_1776:
	s_mov_b64 s[2:3], 0
.LBB14_1777:
	s_andn2_b64 vcc, exec, s[2:3]
	s_cbranch_vccnz .LBB14_1787
; %bb.1778:
	v_and_b32_e32 v7, 0x7fffffff, v3
	s_mov_b32 s2, 0x47800000
	v_cmp_gt_u32_e32 vcc, s2, v7
                                        ; implicit-def: $vgpr4
	s_and_saveexec_b64 s[2:3], vcc
	s_xor_b64 s[2:3], exec, s[2:3]
	s_cbranch_execz .LBB14_1784
; %bb.1779:
	s_mov_b32 s10, 0x387fffff
	v_cmp_lt_u32_e32 vcc, s10, v7
                                        ; implicit-def: $vgpr4
	s_and_saveexec_b64 s[10:11], vcc
	s_xor_b64 s[10:11], exec, s[10:11]
; %bb.1780:
	v_bfe_u32 v4, v3, 21, 1
	s_mov_b32 s12, 0x80fffff
	v_add3_u32 v4, v3, v4, s12
	v_lshrrev_b32_e32 v4, 21, v4
; %bb.1781:
	s_andn2_saveexec_b64 s[10:11], s[10:11]
; %bb.1782:
	s_mov_b32 s12, 0x43000000
	v_add_f32_e64 v4, |v3|, s12
; %bb.1783:
	s_or_b64 exec, exec, s[10:11]
                                        ; implicit-def: $vgpr7
.LBB14_1784:
	s_andn2_saveexec_b64 s[2:3], s[2:3]
; %bb.1785:
	s_mov_b32 s10, 0x7f800000
	v_mov_b32_e32 v4, 0x7c
	v_mov_b32_e32 v8, 0x7f
	v_cmp_lt_u32_e32 vcc, s10, v7
	v_cndmask_b32_e32 v4, v4, v8, vcc
; %bb.1786:
	s_or_b64 exec, exec, s[2:3]
	v_lshrrev_b32_e32 v7, 24, v3
	s_movk_i32 s2, 0x80
	v_and_or_b32 v4, v7, s2, v4
	global_store_byte v[1:2], v4, off
.LBB14_1787:
	s_mov_b64 s[2:3], 0
	s_mov_b64 s[10:11], -1
.LBB14_1788:
	s_andn2_b64 vcc, exec, s[2:3]
	s_mov_b64 s[2:3], 0
	s_cbranch_vccnz .LBB14_1795
; %bb.1789:
	s_cmp_gt_i32 s19, 14
	s_mov_b64 s[12:13], -1
	s_cbranch_scc0 .LBB14_1793
; %bb.1790:
	s_cmp_eq_u32 s19, 15
	s_mov_b64 s[0:1], -1
	s_cbranch_scc0 .LBB14_1792
; %bb.1791:
	v_bfe_u32 v4, v3, 16, 1
	s_movk_i32 s0, 0x7fff
	v_add3_u32 v4, v3, v4, s0
	v_cmp_o_f32_e32 vcc, v3, v3
	v_mov_b32_e32 v7, 0x7fc0
	v_cndmask_b32_sdwa v4, v7, v4, vcc dst_sel:DWORD dst_unused:UNUSED_PAD src0_sel:DWORD src1_sel:WORD_1
	global_store_short v[1:2], v4, off
	s_mov_b64 s[0:1], 0
	s_mov_b64 s[10:11], -1
.LBB14_1792:
	s_mov_b64 s[12:13], 0
.LBB14_1793:
	s_and_b64 vcc, exec, s[12:13]
	s_cbranch_vccz .LBB14_1795
; %bb.1794:
	s_cmp_lg_u32 s19, 11
	s_mov_b64 s[2:3], -1
	s_cselect_b64 s[0:1], -1, 0
.LBB14_1795:
	s_and_b64 vcc, exec, s[0:1]
	s_cbranch_vccnz .LBB14_2045
; %bb.1796:
	s_andn2_b64 vcc, exec, s[2:3]
	s_cbranch_vccnz .LBB14_1798
.LBB14_1797:
	v_cmp_neq_f32_e32 vcc, 0, v3
	v_cndmask_b32_e64 v4, 0, 1, vcc
	s_mov_b64 s[10:11], -1
	global_store_byte v[1:2], v4, off
.LBB14_1798:
	s_mov_b64 s[0:1], 0
	s_branch .LBB14_1800
.LBB14_1799:
	s_mov_b64 s[0:1], -1
	s_mov_b64 s[10:11], 0
.LBB14_1800:
	s_and_b64 vcc, exec, s[0:1]
	s_cbranch_vccz .LBB14_1839
; %bb.1801:
	s_and_b32 s2, 0xffff, s20
	s_cmp_lt_i32 s2, 5
	s_mov_b64 s[0:1], -1
	s_cbranch_scc1 .LBB14_1822
; %bb.1802:
	s_cmp_lt_i32 s2, 8
	s_cbranch_scc1 .LBB14_1812
; %bb.1803:
	s_cmp_lt_i32 s2, 9
	s_cbranch_scc1 .LBB14_1809
; %bb.1804:
	s_cmp_gt_i32 s2, 9
	s_cbranch_scc0 .LBB14_1806
; %bb.1805:
	v_cvt_f64_f32_e32 v[7:8], v3
	v_mov_b32_e32 v9, 0
	v_mov_b32_e32 v10, v9
	s_mov_b64 s[0:1], 0
	global_store_dwordx4 v[1:2], v[7:10], off
.LBB14_1806:
	s_andn2_b64 vcc, exec, s[0:1]
	s_cbranch_vccnz .LBB14_1808
; %bb.1807:
	v_mov_b32_e32 v4, 0
	global_store_dwordx2 v[1:2], v[3:4], off
.LBB14_1808:
	s_mov_b64 s[0:1], 0
.LBB14_1809:
	s_andn2_b64 vcc, exec, s[0:1]
	s_cbranch_vccnz .LBB14_1811
; %bb.1810:
	v_cvt_f16_f32_e32 v4, v3
	global_store_dword v[1:2], v4, off
.LBB14_1811:
	s_mov_b64 s[0:1], 0
.LBB14_1812:
	s_andn2_b64 vcc, exec, s[0:1]
	s_cbranch_vccnz .LBB14_1821
; %bb.1813:
	s_cmp_lt_i32 s2, 6
	s_mov_b64 s[0:1], -1
	s_cbranch_scc1 .LBB14_1819
; %bb.1814:
	s_cmp_gt_i32 s2, 6
	s_cbranch_scc0 .LBB14_1816
; %bb.1815:
	v_cvt_f64_f32_e32 v[7:8], v3
	s_mov_b64 s[0:1], 0
	global_store_dwordx2 v[1:2], v[7:8], off
.LBB14_1816:
	s_andn2_b64 vcc, exec, s[0:1]
	s_cbranch_vccnz .LBB14_1818
; %bb.1817:
	global_store_dword v[1:2], v3, off
.LBB14_1818:
	s_mov_b64 s[0:1], 0
.LBB14_1819:
	s_andn2_b64 vcc, exec, s[0:1]
	s_cbranch_vccnz .LBB14_1821
; %bb.1820:
	v_cvt_f16_f32_e32 v4, v3
	global_store_short v[1:2], v4, off
.LBB14_1821:
	s_mov_b64 s[0:1], 0
.LBB14_1822:
	s_andn2_b64 vcc, exec, s[0:1]
	s_cbranch_vccnz .LBB14_1838
; %bb.1823:
	s_cmp_lt_i32 s2, 2
	s_mov_b64 s[0:1], -1
	s_cbranch_scc1 .LBB14_1833
; %bb.1824:
	s_cmp_lt_i32 s2, 3
	s_cbranch_scc1 .LBB14_1830
; %bb.1825:
	s_cmp_gt_i32 s2, 3
	s_cbranch_scc0 .LBB14_1827
; %bb.1826:
	v_trunc_f32_e32 v4, v3
	s_mov_b32 s0, 0x2f800000
	v_mul_f32_e64 v7, |v4|, s0
	v_floor_f32_e32 v7, v7
	s_mov_b32 s0, 0xcf800000
	v_cvt_u32_f32_e32 v8, v7
	v_fma_f32 v7, v7, s0, |v4|
	v_cvt_u32_f32_e32 v7, v7
	v_ashrrev_i32_e32 v4, 31, v4
	v_xor_b32_e32 v8, v8, v4
	s_mov_b64 s[0:1], 0
	v_xor_b32_e32 v7, v7, v4
	v_sub_co_u32_e32 v7, vcc, v7, v4
	v_subb_co_u32_e32 v8, vcc, v8, v4, vcc
	global_store_dwordx2 v[1:2], v[7:8], off
.LBB14_1827:
	s_andn2_b64 vcc, exec, s[0:1]
	s_cbranch_vccnz .LBB14_1829
; %bb.1828:
	v_cvt_i32_f32_e32 v4, v3
	global_store_dword v[1:2], v4, off
.LBB14_1829:
	s_mov_b64 s[0:1], 0
.LBB14_1830:
	s_andn2_b64 vcc, exec, s[0:1]
	s_cbranch_vccnz .LBB14_1832
; %bb.1831:
	v_cvt_i32_f32_e32 v4, v3
	global_store_short v[1:2], v4, off
.LBB14_1832:
	s_mov_b64 s[0:1], 0
.LBB14_1833:
	s_andn2_b64 vcc, exec, s[0:1]
	s_cbranch_vccnz .LBB14_1838
; %bb.1834:
	s_cmp_gt_i32 s2, 0
	s_mov_b64 s[0:1], -1
	s_cbranch_scc0 .LBB14_1836
; %bb.1835:
	v_cvt_i32_f32_e32 v4, v3
	s_mov_b64 s[0:1], 0
	global_store_byte v[1:2], v4, off
.LBB14_1836:
	s_andn2_b64 vcc, exec, s[0:1]
	s_cbranch_vccnz .LBB14_1838
; %bb.1837:
	v_trunc_f32_e32 v3, v3
	s_mov_b32 s0, 0x2f800000
	v_mul_f32_e64 v4, |v3|, s0
	v_floor_f32_e32 v4, v4
	s_mov_b32 s0, 0xcf800000
	v_fma_f32 v4, v4, s0, |v3|
	v_cvt_u32_f32_e32 v4, v4
	v_ashrrev_i32_e32 v3, 31, v3
	v_xor_b32_e32 v4, v4, v3
	v_sub_u32_e32 v3, v4, v3
	global_store_byte v[1:2], v3, off
.LBB14_1838:
	s_mov_b64 s[10:11], -1
.LBB14_1839:
	s_andn2_b64 vcc, exec, s[10:11]
	s_cbranch_vccnz .LBB14_2035
; %bb.1840:
	v_add_u32_e32 v3, s18, v6
	v_ashrrev_i32_e32 v2, 31, v3
	v_mov_b32_e32 v4, s9
	v_add_co_u32_e32 v1, vcc, s8, v3
	s_cmp_lt_i32 s20, 11
	v_addc_co_u32_e32 v2, vcc, v4, v2, vcc
	s_cbranch_scc1 .LBB14_1918
; %bb.1841:
	s_and_b32 s19, 0xffff, s20
	s_mov_b64 s[12:13], -1
	s_mov_b64 s[2:3], 0
	s_cmp_gt_i32 s19, 25
	s_mov_b64 s[10:11], 0
	s_mov_b64 s[0:1], 0
	s_cbranch_scc0 .LBB14_1874
; %bb.1842:
	s_cmp_gt_i32 s19, 28
	s_cbranch_scc0 .LBB14_1857
; %bb.1843:
	s_cmp_gt_i32 s19, 43
	;; [unrolled: 3-line block ×3, first 2 shown]
	s_cbranch_scc0 .LBB14_1847
; %bb.1845:
	s_mov_b64 s[0:1], -1
	s_mov_b64 s[12:13], 0
	s_cmp_eq_u32 s19, 46
	s_cbranch_scc0 .LBB14_1847
; %bb.1846:
	v_bfe_u32 v4, v5, 16, 1
	s_movk_i32 s0, 0x7fff
	v_add3_u32 v4, v5, v4, s0
	v_cmp_o_f32_e32 vcc, v5, v5
	v_mov_b32_e32 v6, 0x7fc0
	v_cndmask_b32_sdwa v4, v6, v4, vcc dst_sel:DWORD dst_unused:UNUSED_PAD src0_sel:DWORD src1_sel:WORD_1
	global_store_dword v[1:2], v4, off
	s_mov_b64 s[0:1], 0
	s_mov_b64 s[10:11], -1
.LBB14_1847:
	s_and_b64 vcc, exec, s[12:13]
	s_cbranch_vccz .LBB14_1852
; %bb.1848:
	s_cmp_eq_u32 s19, 44
	s_mov_b64 s[0:1], -1
	s_cbranch_scc0 .LBB14_1852
; %bb.1849:
	v_bfe_u32 v4, v5, 23, 8
	s_movk_i32 s0, 0xff
	v_cmp_ne_u32_e32 vcc, s0, v4
	v_mov_b32_e32 v6, 0xff
	s_and_saveexec_b64 s[10:11], vcc
; %bb.1850:
	s_mov_b32 s0, 0x3fffff
	v_and_b32_e32 v7, 0x400000, v5
	v_and_or_b32 v4, v5, s0, v4
	v_cmp_ne_u32_e32 vcc, 0, v7
	v_cmp_ne_u32_e64 s[0:1], 0, v4
	s_and_b64 s[0:1], vcc, s[0:1]
	v_lshrrev_b32_e32 v6, 23, v5
	v_cndmask_b32_e64 v4, 0, 1, s[0:1]
	v_add_u32_e32 v6, v6, v4
; %bb.1851:
	s_or_b64 exec, exec, s[10:11]
	s_mov_b64 s[0:1], 0
	s_mov_b64 s[10:11], -1
	global_store_byte v[1:2], v6, off
.LBB14_1852:
	s_mov_b64 s[12:13], 0
.LBB14_1853:
	s_and_b64 vcc, exec, s[12:13]
	s_cbranch_vccz .LBB14_1856
; %bb.1854:
	s_cmp_eq_u32 s19, 29
	s_mov_b64 s[0:1], -1
	s_cbranch_scc0 .LBB14_1856
; %bb.1855:
	v_trunc_f32_e32 v4, v5
	v_mul_f32_e32 v6, 0x2f800000, v4
	v_floor_f32_e32 v6, v6
	v_fmac_f32_e32 v4, 0xcf800000, v6
	v_cvt_u32_f32_e32 v7, v6
	v_cvt_u32_f32_e32 v6, v4
	s_mov_b64 s[0:1], 0
	s_mov_b64 s[10:11], -1
	global_store_dwordx2 v[1:2], v[6:7], off
.LBB14_1856:
	s_mov_b64 s[12:13], 0
.LBB14_1857:
	s_and_b64 vcc, exec, s[12:13]
	s_cbranch_vccz .LBB14_1873
; %bb.1858:
	s_cmp_lt_i32 s19, 27
	s_mov_b64 s[10:11], -1
	s_cbranch_scc1 .LBB14_1864
; %bb.1859:
	v_cvt_u32_f32_e32 v4, v5
	s_cmp_gt_i32 s19, 27
	s_cbranch_scc0 .LBB14_1861
; %bb.1860:
	s_mov_b64 s[10:11], 0
	global_store_dword v[1:2], v4, off
.LBB14_1861:
	s_andn2_b64 vcc, exec, s[10:11]
	s_cbranch_vccnz .LBB14_1863
; %bb.1862:
	global_store_short v[1:2], v4, off
.LBB14_1863:
	s_mov_b64 s[10:11], 0
.LBB14_1864:
	s_andn2_b64 vcc, exec, s[10:11]
	s_cbranch_vccnz .LBB14_1872
; %bb.1865:
	v_and_b32_e32 v4, 0x7fffffff, v5
	s_mov_b32 s10, 0x43800000
	v_cmp_gt_u32_e32 vcc, s10, v4
	v_mov_b32_e32 v6, 0x80
	s_and_saveexec_b64 s[10:11], vcc
	s_cbranch_execz .LBB14_1871
; %bb.1866:
	s_mov_b32 s12, 0x3bffffff
	v_cmp_lt_u32_e32 vcc, s12, v4
	s_mov_b64 s[12:13], 0
                                        ; implicit-def: $vgpr4
	s_and_saveexec_b64 s[14:15], vcc
	s_xor_b64 s[14:15], exec, s[14:15]
	s_cbranch_execz .LBB14_2048
; %bb.1867:
	v_bfe_u32 v4, v5, 20, 1
	s_mov_b32 s21, 0x487ffff
	v_add3_u32 v4, v5, v4, s21
	s_mov_b64 s[12:13], exec
	v_lshrrev_b32_e32 v4, 20, v4
	s_andn2_saveexec_b64 s[14:15], s[14:15]
	s_cbranch_execnz .LBB14_2049
.LBB14_1868:
	s_or_b64 exec, exec, s[14:15]
	v_mov_b32_e32 v6, 0
	s_and_saveexec_b64 s[14:15], s[12:13]
.LBB14_1869:
	v_lshrrev_b32_e32 v6, 24, v5
	s_movk_i32 s12, 0x80
	v_and_or_b32 v6, v6, s12, v4
.LBB14_1870:
	s_or_b64 exec, exec, s[14:15]
.LBB14_1871:
	s_or_b64 exec, exec, s[10:11]
	global_store_byte v[1:2], v6, off
.LBB14_1872:
	s_mov_b64 s[10:11], -1
.LBB14_1873:
	s_mov_b64 s[12:13], 0
.LBB14_1874:
	s_and_b64 vcc, exec, s[12:13]
	s_cbranch_vccz .LBB14_1914
; %bb.1875:
	s_cmp_gt_i32 s19, 22
	s_mov_b64 s[2:3], -1
	s_cbranch_scc0 .LBB14_1907
; %bb.1876:
	s_cmp_lt_i32 s19, 24
	s_cbranch_scc1 .LBB14_1896
; %bb.1877:
	s_cmp_gt_i32 s19, 24
	s_cbranch_scc0 .LBB14_1885
; %bb.1878:
	v_and_b32_e32 v4, 0x7fffffff, v5
	s_mov_b32 s2, 0x47800000
	v_cmp_gt_u32_e32 vcc, s2, v4
	v_mov_b32_e32 v6, 0x80
	s_and_saveexec_b64 s[2:3], vcc
	s_cbranch_execz .LBB14_1884
; %bb.1879:
	s_mov_b32 s10, 0x37ffffff
	v_cmp_lt_u32_e32 vcc, s10, v4
	s_mov_b64 s[10:11], 0
                                        ; implicit-def: $vgpr4
	s_and_saveexec_b64 s[12:13], vcc
	s_xor_b64 s[12:13], exec, s[12:13]
	s_cbranch_execz .LBB14_2051
; %bb.1880:
	v_bfe_u32 v4, v5, 21, 1
	s_mov_b32 s14, 0x88fffff
	v_add3_u32 v4, v5, v4, s14
	s_mov_b64 s[10:11], exec
	v_lshrrev_b32_e32 v4, 21, v4
	s_andn2_saveexec_b64 s[12:13], s[12:13]
	s_cbranch_execnz .LBB14_2052
.LBB14_1881:
	s_or_b64 exec, exec, s[12:13]
	v_mov_b32_e32 v6, 0
	s_and_saveexec_b64 s[12:13], s[10:11]
.LBB14_1882:
	v_lshrrev_b32_e32 v6, 24, v5
	s_movk_i32 s10, 0x80
	v_and_or_b32 v6, v6, s10, v4
.LBB14_1883:
	s_or_b64 exec, exec, s[12:13]
.LBB14_1884:
	s_or_b64 exec, exec, s[2:3]
	s_mov_b64 s[2:3], 0
	global_store_byte v[1:2], v6, off
.LBB14_1885:
	s_and_b64 vcc, exec, s[2:3]
	s_cbranch_vccz .LBB14_1895
; %bb.1886:
	v_and_b32_e32 v6, 0x7fffffff, v5
	s_mov_b32 s2, 0x43f00000
	v_cmp_gt_u32_e32 vcc, s2, v6
                                        ; implicit-def: $vgpr4
	s_and_saveexec_b64 s[2:3], vcc
	s_xor_b64 s[2:3], exec, s[2:3]
	s_cbranch_execz .LBB14_1892
; %bb.1887:
	s_mov_b32 s10, 0x3c7fffff
	v_cmp_lt_u32_e32 vcc, s10, v6
                                        ; implicit-def: $vgpr4
	s_and_saveexec_b64 s[10:11], vcc
	s_xor_b64 s[10:11], exec, s[10:11]
; %bb.1888:
	v_bfe_u32 v4, v5, 20, 1
	s_mov_b32 s12, 0x407ffff
	v_add3_u32 v4, v5, v4, s12
	v_lshrrev_b32_e32 v6, 20, v4
	v_and_b32_e32 v4, 0xff00000, v4
	s_mov_b32 s12, 0x7f00000
	v_mov_b32_e32 v7, 0x7e
	v_cmp_ne_u32_e32 vcc, s12, v4
	v_cndmask_b32_e32 v4, v7, v6, vcc
; %bb.1889:
	s_andn2_saveexec_b64 s[10:11], s[10:11]
; %bb.1890:
	s_mov_b32 s12, 0x46800000
	v_add_f32_e64 v4, |v5|, s12
; %bb.1891:
	s_or_b64 exec, exec, s[10:11]
                                        ; implicit-def: $vgpr6
.LBB14_1892:
	s_andn2_saveexec_b64 s[2:3], s[2:3]
; %bb.1893:
	s_mov_b32 s10, 0x7f800000
	v_mov_b32_e32 v4, 0x7e
	v_mov_b32_e32 v7, 0x7f
	v_cmp_lt_u32_e32 vcc, s10, v6
	v_cndmask_b32_e32 v4, v4, v7, vcc
; %bb.1894:
	s_or_b64 exec, exec, s[2:3]
	v_lshrrev_b32_e32 v6, 24, v5
	s_movk_i32 s2, 0x80
	v_and_or_b32 v4, v6, s2, v4
	global_store_byte v[1:2], v4, off
.LBB14_1895:
	s_mov_b64 s[2:3], 0
.LBB14_1896:
	s_andn2_b64 vcc, exec, s[2:3]
	s_cbranch_vccnz .LBB14_1906
; %bb.1897:
	v_and_b32_e32 v6, 0x7fffffff, v5
	s_mov_b32 s2, 0x47800000
	v_cmp_gt_u32_e32 vcc, s2, v6
                                        ; implicit-def: $vgpr4
	s_and_saveexec_b64 s[2:3], vcc
	s_xor_b64 s[2:3], exec, s[2:3]
	s_cbranch_execz .LBB14_1903
; %bb.1898:
	s_mov_b32 s10, 0x387fffff
	v_cmp_lt_u32_e32 vcc, s10, v6
                                        ; implicit-def: $vgpr4
	s_and_saveexec_b64 s[10:11], vcc
	s_xor_b64 s[10:11], exec, s[10:11]
; %bb.1899:
	v_bfe_u32 v4, v5, 21, 1
	s_mov_b32 s12, 0x80fffff
	v_add3_u32 v4, v5, v4, s12
	v_lshrrev_b32_e32 v4, 21, v4
; %bb.1900:
	s_andn2_saveexec_b64 s[10:11], s[10:11]
; %bb.1901:
	s_mov_b32 s12, 0x43000000
	v_add_f32_e64 v4, |v5|, s12
; %bb.1902:
	s_or_b64 exec, exec, s[10:11]
                                        ; implicit-def: $vgpr6
.LBB14_1903:
	s_andn2_saveexec_b64 s[2:3], s[2:3]
; %bb.1904:
	s_mov_b32 s10, 0x7f800000
	v_mov_b32_e32 v4, 0x7c
	v_mov_b32_e32 v7, 0x7f
	v_cmp_lt_u32_e32 vcc, s10, v6
	v_cndmask_b32_e32 v4, v4, v7, vcc
; %bb.1905:
	s_or_b64 exec, exec, s[2:3]
	v_lshrrev_b32_e32 v6, 24, v5
	s_movk_i32 s2, 0x80
	v_and_or_b32 v4, v6, s2, v4
	global_store_byte v[1:2], v4, off
.LBB14_1906:
	s_mov_b64 s[2:3], 0
	s_mov_b64 s[10:11], -1
.LBB14_1907:
	s_andn2_b64 vcc, exec, s[2:3]
	s_mov_b64 s[2:3], 0
	s_cbranch_vccnz .LBB14_1914
; %bb.1908:
	s_cmp_gt_i32 s19, 14
	s_mov_b64 s[12:13], -1
	s_cbranch_scc0 .LBB14_1912
; %bb.1909:
	s_cmp_eq_u32 s19, 15
	s_mov_b64 s[0:1], -1
	s_cbranch_scc0 .LBB14_1911
; %bb.1910:
	v_bfe_u32 v4, v5, 16, 1
	s_movk_i32 s0, 0x7fff
	v_add3_u32 v4, v5, v4, s0
	v_cmp_o_f32_e32 vcc, v5, v5
	v_mov_b32_e32 v6, 0x7fc0
	v_cndmask_b32_sdwa v4, v6, v4, vcc dst_sel:DWORD dst_unused:UNUSED_PAD src0_sel:DWORD src1_sel:WORD_1
	global_store_short v[1:2], v4, off
	s_mov_b64 s[0:1], 0
	s_mov_b64 s[10:11], -1
.LBB14_1911:
	s_mov_b64 s[12:13], 0
.LBB14_1912:
	s_and_b64 vcc, exec, s[12:13]
	s_cbranch_vccz .LBB14_1914
; %bb.1913:
	s_cmp_lg_u32 s19, 11
	s_mov_b64 s[2:3], -1
	s_cselect_b64 s[0:1], -1, 0
.LBB14_1914:
	s_and_b64 vcc, exec, s[0:1]
	s_cbranch_vccnz .LBB14_2050
; %bb.1915:
	s_andn2_b64 vcc, exec, s[2:3]
	s_cbranch_vccnz .LBB14_1917
.LBB14_1916:
	v_cmp_neq_f32_e32 vcc, 0, v5
	v_cndmask_b32_e64 v4, 0, 1, vcc
	s_mov_b64 s[10:11], -1
	global_store_byte v[1:2], v4, off
.LBB14_1917:
	s_mov_b64 s[0:1], 0
	s_branch .LBB14_1919
.LBB14_1918:
	s_mov_b64 s[0:1], -1
	s_mov_b64 s[10:11], 0
.LBB14_1919:
	s_and_b64 vcc, exec, s[0:1]
	s_cbranch_vccz .LBB14_1958
; %bb.1920:
	s_and_b32 s2, 0xffff, s20
	s_cmp_lt_i32 s2, 5
	s_mov_b64 s[0:1], -1
	s_cbranch_scc1 .LBB14_1941
; %bb.1921:
	s_cmp_lt_i32 s2, 8
	s_cbranch_scc1 .LBB14_1931
; %bb.1922:
	s_cmp_lt_i32 s2, 9
	s_cbranch_scc1 .LBB14_1928
; %bb.1923:
	s_cmp_gt_i32 s2, 9
	s_cbranch_scc0 .LBB14_1925
; %bb.1924:
	v_cvt_f64_f32_e32 v[6:7], v5
	v_mov_b32_e32 v8, 0
	v_mov_b32_e32 v9, v8
	s_mov_b64 s[0:1], 0
	global_store_dwordx4 v[1:2], v[6:9], off
.LBB14_1925:
	s_andn2_b64 vcc, exec, s[0:1]
	s_cbranch_vccnz .LBB14_1927
; %bb.1926:
	v_mov_b32_e32 v6, 0
	global_store_dwordx2 v[1:2], v[5:6], off
.LBB14_1927:
	s_mov_b64 s[0:1], 0
.LBB14_1928:
	s_andn2_b64 vcc, exec, s[0:1]
	s_cbranch_vccnz .LBB14_1930
; %bb.1929:
	v_cvt_f16_f32_e32 v4, v5
	global_store_dword v[1:2], v4, off
.LBB14_1930:
	s_mov_b64 s[0:1], 0
.LBB14_1931:
	s_andn2_b64 vcc, exec, s[0:1]
	s_cbranch_vccnz .LBB14_1940
; %bb.1932:
	s_cmp_lt_i32 s2, 6
	s_mov_b64 s[0:1], -1
	s_cbranch_scc1 .LBB14_1938
; %bb.1933:
	s_cmp_gt_i32 s2, 6
	s_cbranch_scc0 .LBB14_1935
; %bb.1934:
	v_cvt_f64_f32_e32 v[6:7], v5
	s_mov_b64 s[0:1], 0
	global_store_dwordx2 v[1:2], v[6:7], off
.LBB14_1935:
	s_andn2_b64 vcc, exec, s[0:1]
	s_cbranch_vccnz .LBB14_1937
; %bb.1936:
	global_store_dword v[1:2], v5, off
.LBB14_1937:
	s_mov_b64 s[0:1], 0
.LBB14_1938:
	s_andn2_b64 vcc, exec, s[0:1]
	s_cbranch_vccnz .LBB14_1940
; %bb.1939:
	v_cvt_f16_f32_e32 v4, v5
	global_store_short v[1:2], v4, off
.LBB14_1940:
	s_mov_b64 s[0:1], 0
.LBB14_1941:
	s_andn2_b64 vcc, exec, s[0:1]
	s_cbranch_vccnz .LBB14_1957
; %bb.1942:
	s_cmp_lt_i32 s2, 2
	s_mov_b64 s[0:1], -1
	s_cbranch_scc1 .LBB14_1952
; %bb.1943:
	s_cmp_lt_i32 s2, 3
	s_cbranch_scc1 .LBB14_1949
; %bb.1944:
	s_cmp_gt_i32 s2, 3
	s_cbranch_scc0 .LBB14_1946
; %bb.1945:
	v_trunc_f32_e32 v4, v5
	s_mov_b32 s0, 0x2f800000
	v_mul_f32_e64 v6, |v4|, s0
	v_floor_f32_e32 v6, v6
	s_mov_b32 s0, 0xcf800000
	v_cvt_u32_f32_e32 v7, v6
	v_fma_f32 v6, v6, s0, |v4|
	v_cvt_u32_f32_e32 v6, v6
	v_ashrrev_i32_e32 v4, 31, v4
	v_xor_b32_e32 v7, v7, v4
	s_mov_b64 s[0:1], 0
	v_xor_b32_e32 v6, v6, v4
	v_sub_co_u32_e32 v6, vcc, v6, v4
	v_subb_co_u32_e32 v7, vcc, v7, v4, vcc
	global_store_dwordx2 v[1:2], v[6:7], off
.LBB14_1946:
	s_andn2_b64 vcc, exec, s[0:1]
	s_cbranch_vccnz .LBB14_1948
; %bb.1947:
	v_cvt_i32_f32_e32 v4, v5
	global_store_dword v[1:2], v4, off
.LBB14_1948:
	s_mov_b64 s[0:1], 0
.LBB14_1949:
	s_andn2_b64 vcc, exec, s[0:1]
	s_cbranch_vccnz .LBB14_1951
; %bb.1950:
	v_cvt_i32_f32_e32 v4, v5
	global_store_short v[1:2], v4, off
.LBB14_1951:
	s_mov_b64 s[0:1], 0
.LBB14_1952:
	s_andn2_b64 vcc, exec, s[0:1]
	s_cbranch_vccnz .LBB14_1957
; %bb.1953:
	s_cmp_gt_i32 s2, 0
	s_mov_b64 s[0:1], -1
	s_cbranch_scc0 .LBB14_1955
; %bb.1954:
	v_cvt_i32_f32_e32 v4, v5
	s_mov_b64 s[0:1], 0
	global_store_byte v[1:2], v4, off
.LBB14_1955:
	s_andn2_b64 vcc, exec, s[0:1]
	s_cbranch_vccnz .LBB14_1957
; %bb.1956:
	v_trunc_f32_e32 v4, v5
	s_mov_b32 s0, 0x2f800000
	v_mul_f32_e64 v5, |v4|, s0
	v_floor_f32_e32 v5, v5
	s_mov_b32 s0, 0xcf800000
	v_fma_f32 v5, v5, s0, |v4|
	v_cvt_u32_f32_e32 v5, v5
	v_ashrrev_i32_e32 v4, 31, v4
	v_xor_b32_e32 v5, v5, v4
	v_sub_u32_e32 v4, v5, v4
	global_store_byte v[1:2], v4, off
.LBB14_1957:
	s_mov_b64 s[10:11], -1
.LBB14_1958:
	s_andn2_b64 vcc, exec, s[10:11]
	s_cbranch_vccnz .LBB14_2035
; %bb.1959:
	v_add_u32_e32 v1, s18, v3
	v_ashrrev_i32_e32 v3, 31, v1
	v_mov_b32_e32 v4, s9
	v_add_co_u32_e32 v2, vcc, s8, v1
	s_cmp_lt_i32 s20, 11
	v_addc_co_u32_e32 v3, vcc, v4, v3, vcc
	s_cbranch_scc1 .LBB14_2036
; %bb.1960:
	s_and_b32 s14, 0xffff, s20
	s_mov_b64 s[8:9], -1
	s_mov_b64 s[2:3], 0
	s_cmp_gt_i32 s14, 25
	s_mov_b64 s[0:1], 0
	s_cbranch_scc0 .LBB14_1993
; %bb.1961:
	s_cmp_gt_i32 s14, 28
	s_cbranch_scc0 .LBB14_1977
; %bb.1962:
	s_cmp_gt_i32 s14, 43
	;; [unrolled: 3-line block ×3, first 2 shown]
	s_cbranch_scc0 .LBB14_1967
; %bb.1964:
	s_cmp_eq_u32 s14, 46
	s_mov_b64 s[0:1], -1
	s_cbranch_scc0 .LBB14_1966
; %bb.1965:
	v_bfe_u32 v1, v0, 16, 1
	s_movk_i32 s0, 0x7fff
	v_add3_u32 v1, v0, v1, s0
	v_cmp_o_f32_e32 vcc, v0, v0
	v_mov_b32_e32 v4, 0x7fc0
	v_cndmask_b32_sdwa v1, v4, v1, vcc dst_sel:DWORD dst_unused:UNUSED_PAD src0_sel:DWORD src1_sel:WORD_1
	global_store_dword v[2:3], v1, off
	s_mov_b64 s[0:1], 0
.LBB14_1966:
	s_mov_b64 s[8:9], 0
.LBB14_1967:
	s_and_b64 vcc, exec, s[8:9]
	s_cbranch_vccz .LBB14_1972
; %bb.1968:
	s_cmp_eq_u32 s14, 44
	s_mov_b64 s[0:1], -1
	s_cbranch_scc0 .LBB14_1972
; %bb.1969:
	v_bfe_u32 v1, v0, 23, 8
	s_movk_i32 s0, 0xff
	v_cmp_ne_u32_e32 vcc, s0, v1
	v_mov_b32_e32 v4, 0xff
	s_and_saveexec_b64 s[8:9], vcc
; %bb.1970:
	s_mov_b32 s0, 0x3fffff
	v_and_b32_e32 v5, 0x400000, v0
	v_and_or_b32 v1, v0, s0, v1
	v_cmp_ne_u32_e32 vcc, 0, v5
	v_cmp_ne_u32_e64 s[0:1], 0, v1
	s_and_b64 s[0:1], vcc, s[0:1]
	v_lshrrev_b32_e32 v4, 23, v0
	v_cndmask_b32_e64 v1, 0, 1, s[0:1]
	v_add_u32_e32 v4, v4, v1
; %bb.1971:
	s_or_b64 exec, exec, s[8:9]
	s_mov_b64 s[0:1], 0
	global_store_byte v[2:3], v4, off
.LBB14_1972:
	s_mov_b64 s[8:9], 0
.LBB14_1973:
	s_and_b64 vcc, exec, s[8:9]
	s_cbranch_vccz .LBB14_1976
; %bb.1974:
	s_cmp_eq_u32 s14, 29
	s_mov_b64 s[0:1], -1
	s_cbranch_scc0 .LBB14_1976
; %bb.1975:
	v_trunc_f32_e32 v1, v0
	v_mul_f32_e32 v4, 0x2f800000, v1
	v_floor_f32_e32 v4, v4
	v_fmac_f32_e32 v1, 0xcf800000, v4
	v_cvt_u32_f32_e32 v5, v4
	v_cvt_u32_f32_e32 v4, v1
	s_mov_b64 s[0:1], 0
	global_store_dwordx2 v[2:3], v[4:5], off
.LBB14_1976:
	s_mov_b64 s[8:9], 0
.LBB14_1977:
	s_and_b64 vcc, exec, s[8:9]
	s_cbranch_vccz .LBB14_1992
; %bb.1978:
	s_cmp_lt_i32 s14, 27
	s_mov_b64 s[8:9], -1
	s_cbranch_scc1 .LBB14_1984
; %bb.1979:
	v_cvt_u32_f32_e32 v1, v0
	s_cmp_gt_i32 s14, 27
	s_cbranch_scc0 .LBB14_1981
; %bb.1980:
	global_store_dword v[2:3], v1, off
	s_mov_b64 s[8:9], 0
.LBB14_1981:
	s_andn2_b64 vcc, exec, s[8:9]
	s_cbranch_vccnz .LBB14_1983
; %bb.1982:
	global_store_short v[2:3], v1, off
.LBB14_1983:
	s_mov_b64 s[8:9], 0
.LBB14_1984:
	s_andn2_b64 vcc, exec, s[8:9]
	s_cbranch_vccnz .LBB14_1992
; %bb.1985:
	v_and_b32_e32 v1, 0x7fffffff, v0
	s_mov_b32 s8, 0x43800000
	v_cmp_gt_u32_e32 vcc, s8, v1
	v_mov_b32_e32 v4, 0x80
	s_and_saveexec_b64 s[8:9], vcc
	s_cbranch_execz .LBB14_1991
; %bb.1986:
	s_mov_b32 s10, 0x3bffffff
	v_cmp_lt_u32_e32 vcc, s10, v1
	s_mov_b64 s[10:11], 0
                                        ; implicit-def: $vgpr1
	s_and_saveexec_b64 s[12:13], vcc
	s_xor_b64 s[12:13], exec, s[12:13]
	s_cbranch_execz .LBB14_2053
; %bb.1987:
	v_bfe_u32 v1, v0, 20, 1
	s_mov_b32 s15, 0x487ffff
	v_add3_u32 v1, v0, v1, s15
	s_mov_b64 s[10:11], exec
	v_lshrrev_b32_e32 v1, 20, v1
	s_andn2_saveexec_b64 s[12:13], s[12:13]
	s_cbranch_execnz .LBB14_2054
.LBB14_1988:
	s_or_b64 exec, exec, s[12:13]
	v_mov_b32_e32 v4, 0
	s_and_saveexec_b64 s[12:13], s[10:11]
.LBB14_1989:
	v_lshrrev_b32_e32 v4, 24, v0
	s_movk_i32 s10, 0x80
	v_and_or_b32 v4, v4, s10, v1
.LBB14_1990:
	s_or_b64 exec, exec, s[12:13]
.LBB14_1991:
	s_or_b64 exec, exec, s[8:9]
	global_store_byte v[2:3], v4, off
.LBB14_1992:
	s_mov_b64 s[8:9], 0
.LBB14_1993:
	s_and_b64 vcc, exec, s[8:9]
	s_cbranch_vccz .LBB14_2033
; %bb.1994:
	s_cmp_gt_i32 s14, 22
	s_mov_b64 s[2:3], -1
	s_cbranch_scc0 .LBB14_2026
; %bb.1995:
	s_cmp_lt_i32 s14, 24
	s_cbranch_scc1 .LBB14_2015
; %bb.1996:
	s_cmp_gt_i32 s14, 24
	s_cbranch_scc0 .LBB14_2004
; %bb.1997:
	v_and_b32_e32 v1, 0x7fffffff, v0
	s_mov_b32 s2, 0x47800000
	v_cmp_gt_u32_e32 vcc, s2, v1
	v_mov_b32_e32 v4, 0x80
	s_and_saveexec_b64 s[2:3], vcc
	s_cbranch_execz .LBB14_2003
; %bb.1998:
	s_mov_b32 s8, 0x37ffffff
	v_cmp_lt_u32_e32 vcc, s8, v1
	s_mov_b64 s[8:9], 0
                                        ; implicit-def: $vgpr1
	s_and_saveexec_b64 s[10:11], vcc
	s_xor_b64 s[10:11], exec, s[10:11]
	s_cbranch_execz .LBB14_2056
; %bb.1999:
	v_bfe_u32 v1, v0, 21, 1
	s_mov_b32 s12, 0x88fffff
	v_add3_u32 v1, v0, v1, s12
	s_mov_b64 s[8:9], exec
	v_lshrrev_b32_e32 v1, 21, v1
	s_andn2_saveexec_b64 s[10:11], s[10:11]
	s_cbranch_execnz .LBB14_2057
.LBB14_2000:
	s_or_b64 exec, exec, s[10:11]
	v_mov_b32_e32 v4, 0
	s_and_saveexec_b64 s[10:11], s[8:9]
.LBB14_2001:
	v_lshrrev_b32_e32 v4, 24, v0
	s_movk_i32 s8, 0x80
	v_and_or_b32 v4, v4, s8, v1
.LBB14_2002:
	s_or_b64 exec, exec, s[10:11]
.LBB14_2003:
	s_or_b64 exec, exec, s[2:3]
	s_mov_b64 s[2:3], 0
	global_store_byte v[2:3], v4, off
.LBB14_2004:
	s_and_b64 vcc, exec, s[2:3]
	s_cbranch_vccz .LBB14_2014
; %bb.2005:
	v_and_b32_e32 v4, 0x7fffffff, v0
	s_mov_b32 s2, 0x43f00000
	v_cmp_gt_u32_e32 vcc, s2, v4
                                        ; implicit-def: $vgpr1
	s_and_saveexec_b64 s[2:3], vcc
	s_xor_b64 s[2:3], exec, s[2:3]
	s_cbranch_execz .LBB14_2011
; %bb.2006:
	s_mov_b32 s8, 0x3c7fffff
	v_cmp_lt_u32_e32 vcc, s8, v4
                                        ; implicit-def: $vgpr1
	s_and_saveexec_b64 s[8:9], vcc
	s_xor_b64 s[8:9], exec, s[8:9]
; %bb.2007:
	v_bfe_u32 v1, v0, 20, 1
	s_mov_b32 s10, 0x407ffff
	v_add3_u32 v1, v0, v1, s10
	v_lshrrev_b32_e32 v4, 20, v1
	v_and_b32_e32 v1, 0xff00000, v1
	s_mov_b32 s10, 0x7f00000
	v_mov_b32_e32 v5, 0x7e
	v_cmp_ne_u32_e32 vcc, s10, v1
	v_cndmask_b32_e32 v1, v5, v4, vcc
; %bb.2008:
	s_andn2_saveexec_b64 s[8:9], s[8:9]
; %bb.2009:
	s_mov_b32 s10, 0x46800000
	v_add_f32_e64 v1, |v0|, s10
; %bb.2010:
	s_or_b64 exec, exec, s[8:9]
                                        ; implicit-def: $vgpr4
.LBB14_2011:
	s_andn2_saveexec_b64 s[2:3], s[2:3]
; %bb.2012:
	s_mov_b32 s8, 0x7f800000
	v_mov_b32_e32 v1, 0x7e
	v_mov_b32_e32 v5, 0x7f
	v_cmp_lt_u32_e32 vcc, s8, v4
	v_cndmask_b32_e32 v1, v1, v5, vcc
; %bb.2013:
	s_or_b64 exec, exec, s[2:3]
	v_lshrrev_b32_e32 v4, 24, v0
	s_movk_i32 s2, 0x80
	v_and_or_b32 v1, v4, s2, v1
	global_store_byte v[2:3], v1, off
.LBB14_2014:
	s_mov_b64 s[2:3], 0
.LBB14_2015:
	s_andn2_b64 vcc, exec, s[2:3]
	s_cbranch_vccnz .LBB14_2025
; %bb.2016:
	v_and_b32_e32 v4, 0x7fffffff, v0
	s_mov_b32 s2, 0x47800000
	v_cmp_gt_u32_e32 vcc, s2, v4
                                        ; implicit-def: $vgpr1
	s_and_saveexec_b64 s[2:3], vcc
	s_xor_b64 s[2:3], exec, s[2:3]
	s_cbranch_execz .LBB14_2022
; %bb.2017:
	s_mov_b32 s8, 0x387fffff
	v_cmp_lt_u32_e32 vcc, s8, v4
                                        ; implicit-def: $vgpr1
	s_and_saveexec_b64 s[8:9], vcc
	s_xor_b64 s[8:9], exec, s[8:9]
; %bb.2018:
	v_bfe_u32 v1, v0, 21, 1
	s_mov_b32 s10, 0x80fffff
	v_add3_u32 v1, v0, v1, s10
	v_lshrrev_b32_e32 v1, 21, v1
; %bb.2019:
	s_andn2_saveexec_b64 s[8:9], s[8:9]
; %bb.2020:
	s_mov_b32 s10, 0x43000000
	v_add_f32_e64 v1, |v0|, s10
; %bb.2021:
	s_or_b64 exec, exec, s[8:9]
                                        ; implicit-def: $vgpr4
.LBB14_2022:
	s_andn2_saveexec_b64 s[2:3], s[2:3]
; %bb.2023:
	s_mov_b32 s8, 0x7f800000
	v_mov_b32_e32 v1, 0x7c
	v_mov_b32_e32 v5, 0x7f
	v_cmp_lt_u32_e32 vcc, s8, v4
	v_cndmask_b32_e32 v1, v1, v5, vcc
; %bb.2024:
	s_or_b64 exec, exec, s[2:3]
	v_lshrrev_b32_e32 v4, 24, v0
	s_movk_i32 s2, 0x80
	v_and_or_b32 v1, v4, s2, v1
	global_store_byte v[2:3], v1, off
.LBB14_2025:
	s_mov_b64 s[2:3], 0
.LBB14_2026:
	s_andn2_b64 vcc, exec, s[2:3]
	s_mov_b64 s[2:3], 0
	s_cbranch_vccnz .LBB14_2033
; %bb.2027:
	s_cmp_gt_i32 s14, 14
	s_mov_b64 s[8:9], -1
	s_cbranch_scc0 .LBB14_2031
; %bb.2028:
	s_cmp_eq_u32 s14, 15
	s_mov_b64 s[0:1], -1
	s_cbranch_scc0 .LBB14_2030
; %bb.2029:
	v_bfe_u32 v1, v0, 16, 1
	s_movk_i32 s0, 0x7fff
	v_add3_u32 v1, v0, v1, s0
	v_cmp_o_f32_e32 vcc, v0, v0
	v_mov_b32_e32 v4, 0x7fc0
	v_cndmask_b32_sdwa v1, v4, v1, vcc dst_sel:DWORD dst_unused:UNUSED_PAD src0_sel:DWORD src1_sel:WORD_1
	global_store_short v[2:3], v1, off
	s_mov_b64 s[0:1], 0
.LBB14_2030:
	s_mov_b64 s[8:9], 0
.LBB14_2031:
	s_and_b64 vcc, exec, s[8:9]
	s_cbranch_vccz .LBB14_2033
; %bb.2032:
	s_cmp_lg_u32 s14, 11
	s_mov_b64 s[2:3], -1
	s_cselect_b64 s[0:1], -1, 0
.LBB14_2033:
	s_and_b64 vcc, exec, s[0:1]
	s_cbranch_vccnz .LBB14_2055
.LBB14_2034:
	s_mov_b64 s[0:1], 0
	s_branch .LBB14_1636
.LBB14_2035:
	s_mov_b64 s[0:1], 0
                                        ; implicit-def: $sgpr20
                                        ; implicit-def: $vgpr2_vgpr3
	s_branch .LBB14_1635
.LBB14_2036:
	s_mov_b64 s[2:3], 0
	s_mov_b64 s[0:1], -1
	s_branch .LBB14_1636
.LBB14_2037:
	s_trap 2
	s_or_b64 s[16:17], s[16:17], exec
	s_cbranch_execz .LBB14_1502
	s_branch .LBB14_1503
.LBB14_2038:
	s_andn2_saveexec_b64 s[18:19], s[18:19]
	s_cbranch_execz .LBB14_1584
.LBB14_2039:
	s_mov_b32 s21, 0x46000000
	v_add_f32_e64 v2, |v1|, s21
	v_and_b32_e32 v2, 0xff, v2
	v_cmp_ne_u32_e32 vcc, 0, v2
	s_andn2_b64 s[14:15], s[14:15], exec
	s_and_b64 s[22:23], vcc, exec
	s_or_b64 s[14:15], s[14:15], s[22:23]
	s_or_b64 exec, exec, s[18:19]
	v_mov_b32_e32 v8, 0
	s_and_saveexec_b64 s[18:19], s[14:15]
	s_cbranch_execnz .LBB14_1585
	s_branch .LBB14_1586
.LBB14_2040:
	s_trap 2
	s_or_b64 s[16:17], s[16:17], exec
	s_cbranch_execz .LBB14_1632
	s_branch .LBB14_1633
.LBB14_2041:
	s_andn2_saveexec_b64 s[14:15], s[14:15]
	s_cbranch_execz .LBB14_1597
.LBB14_2042:
	s_mov_b32 s18, 0x42800000
	v_add_f32_e64 v2, |v1|, s18
	v_and_b32_e32 v2, 0xff, v2
	v_cmp_ne_u32_e32 vcc, 0, v2
	s_andn2_b64 s[10:11], s[10:11], exec
	s_and_b64 s[18:19], vcc, exec
	s_or_b64 s[10:11], s[10:11], s[18:19]
	s_or_b64 exec, exec, s[14:15]
	v_mov_b32_e32 v8, 0
	s_and_saveexec_b64 s[14:15], s[10:11]
	s_cbranch_execnz .LBB14_1598
	s_branch .LBB14_1599
.LBB14_2043:
	s_andn2_saveexec_b64 s[14:15], s[14:15]
	s_cbranch_execz .LBB14_1749
.LBB14_2044:
	s_mov_b32 s21, 0x46000000
	v_add_f32_e64 v4, |v3|, s21
	v_and_b32_e32 v4, 0xff, v4
	v_cmp_ne_u32_e32 vcc, 0, v4
	s_andn2_b64 s[12:13], s[12:13], exec
	s_and_b64 s[22:23], vcc, exec
	s_or_b64 s[12:13], s[12:13], s[22:23]
	s_or_b64 exec, exec, s[14:15]
	v_mov_b32_e32 v7, 0
	s_and_saveexec_b64 s[14:15], s[12:13]
	s_cbranch_execnz .LBB14_1750
	s_branch .LBB14_1751
.LBB14_2045:
	s_trap 2
	s_or_b64 s[16:17], s[16:17], exec
	s_cbranch_execz .LBB14_1797
	s_branch .LBB14_1798
.LBB14_2046:
	s_andn2_saveexec_b64 s[12:13], s[12:13]
	s_cbranch_execz .LBB14_1762
.LBB14_2047:
	s_mov_b32 s14, 0x42800000
	v_add_f32_e64 v4, |v3|, s14
	v_and_b32_e32 v4, 0xff, v4
	v_cmp_ne_u32_e32 vcc, 0, v4
	s_andn2_b64 s[10:11], s[10:11], exec
	s_and_b64 s[14:15], vcc, exec
	s_or_b64 s[10:11], s[10:11], s[14:15]
	s_or_b64 exec, exec, s[12:13]
	v_mov_b32_e32 v7, 0
	s_and_saveexec_b64 s[12:13], s[10:11]
	s_cbranch_execnz .LBB14_1763
	s_branch .LBB14_1764
.LBB14_2048:
	s_andn2_saveexec_b64 s[14:15], s[14:15]
	s_cbranch_execz .LBB14_1868
.LBB14_2049:
	s_mov_b32 s21, 0x46000000
	v_add_f32_e64 v4, |v5|, s21
	v_and_b32_e32 v4, 0xff, v4
	v_cmp_ne_u32_e32 vcc, 0, v4
	s_andn2_b64 s[12:13], s[12:13], exec
	s_and_b64 s[22:23], vcc, exec
	s_or_b64 s[12:13], s[12:13], s[22:23]
	s_or_b64 exec, exec, s[14:15]
	v_mov_b32_e32 v6, 0
	s_and_saveexec_b64 s[14:15], s[12:13]
	s_cbranch_execnz .LBB14_1869
	s_branch .LBB14_1870
.LBB14_2050:
	s_trap 2
	s_or_b64 s[16:17], s[16:17], exec
	s_cbranch_execz .LBB14_1916
	s_branch .LBB14_1917
.LBB14_2051:
	s_andn2_saveexec_b64 s[12:13], s[12:13]
	s_cbranch_execz .LBB14_1881
.LBB14_2052:
	s_mov_b32 s14, 0x42800000
	v_add_f32_e64 v4, |v5|, s14
	v_and_b32_e32 v4, 0xff, v4
	v_cmp_ne_u32_e32 vcc, 0, v4
	s_andn2_b64 s[10:11], s[10:11], exec
	s_and_b64 s[14:15], vcc, exec
	s_or_b64 s[10:11], s[10:11], s[14:15]
	s_or_b64 exec, exec, s[12:13]
	v_mov_b32_e32 v6, 0
	s_and_saveexec_b64 s[12:13], s[10:11]
	s_cbranch_execnz .LBB14_1882
	s_branch .LBB14_1883
.LBB14_2053:
	s_andn2_saveexec_b64 s[12:13], s[12:13]
	s_cbranch_execz .LBB14_1988
.LBB14_2054:
	s_mov_b32 s15, 0x46000000
	v_add_f32_e64 v1, |v0|, s15
	v_and_b32_e32 v1, 0xff, v1
	v_cmp_ne_u32_e32 vcc, 0, v1
	s_andn2_b64 s[10:11], s[10:11], exec
	s_and_b64 s[18:19], vcc, exec
	s_or_b64 s[10:11], s[10:11], s[18:19]
	s_or_b64 exec, exec, s[12:13]
	v_mov_b32_e32 v4, 0
	s_and_saveexec_b64 s[12:13], s[10:11]
	s_cbranch_execnz .LBB14_1989
	s_branch .LBB14_1990
.LBB14_2055:
	s_mov_b64 s[2:3], 0
	s_or_b64 s[16:17], s[16:17], exec
	s_trap 2
	s_branch .LBB14_2034
.LBB14_2056:
	s_andn2_saveexec_b64 s[10:11], s[10:11]
	s_cbranch_execz .LBB14_2000
.LBB14_2057:
	s_mov_b32 s12, 0x42800000
	v_add_f32_e64 v1, |v0|, s12
	v_and_b32_e32 v1, 0xff, v1
	v_cmp_ne_u32_e32 vcc, 0, v1
	s_andn2_b64 s[8:9], s[8:9], exec
	s_and_b64 s[12:13], vcc, exec
	s_or_b64 s[8:9], s[8:9], s[12:13]
	s_or_b64 exec, exec, s[10:11]
	v_mov_b32_e32 v4, 0
	s_and_saveexec_b64 s[10:11], s[8:9]
	s_cbranch_execnz .LBB14_2001
	s_branch .LBB14_2002
	.section	.rodata,"a",@progbits
	.p2align	6, 0x0
	.amdhsa_kernel _ZN2at6native32elementwise_kernel_manual_unrollILi128ELi4EZNS0_15gpu_kernel_implIZZZNS0_12_GLOBAL__N_124renorm_scale_factor_implERNS_18TensorIteratorBaseEdENKUlvE_clEvENKUlvE0_clEvEUlfE_EEvS5_RKT_EUlibE_EEviT1_
		.amdhsa_group_segment_fixed_size 0
		.amdhsa_private_segment_fixed_size 0
		.amdhsa_kernarg_size 40
		.amdhsa_user_sgpr_count 6
		.amdhsa_user_sgpr_private_segment_buffer 1
		.amdhsa_user_sgpr_dispatch_ptr 0
		.amdhsa_user_sgpr_queue_ptr 0
		.amdhsa_user_sgpr_kernarg_segment_ptr 1
		.amdhsa_user_sgpr_dispatch_id 0
		.amdhsa_user_sgpr_flat_scratch_init 0
		.amdhsa_user_sgpr_private_segment_size 0
		.amdhsa_uses_dynamic_stack 0
		.amdhsa_system_sgpr_private_segment_wavefront_offset 0
		.amdhsa_system_sgpr_workgroup_id_x 1
		.amdhsa_system_sgpr_workgroup_id_y 0
		.amdhsa_system_sgpr_workgroup_id_z 0
		.amdhsa_system_sgpr_workgroup_info 0
		.amdhsa_system_vgpr_workitem_id 0
		.amdhsa_next_free_vgpr 12
		.amdhsa_next_free_sgpr 45
		.amdhsa_reserve_vcc 1
		.amdhsa_reserve_flat_scratch 0
		.amdhsa_float_round_mode_32 0
		.amdhsa_float_round_mode_16_64 0
		.amdhsa_float_denorm_mode_32 3
		.amdhsa_float_denorm_mode_16_64 3
		.amdhsa_dx10_clamp 1
		.amdhsa_ieee_mode 1
		.amdhsa_fp16_overflow 0
		.amdhsa_exception_fp_ieee_invalid_op 0
		.amdhsa_exception_fp_denorm_src 0
		.amdhsa_exception_fp_ieee_div_zero 0
		.amdhsa_exception_fp_ieee_overflow 0
		.amdhsa_exception_fp_ieee_underflow 0
		.amdhsa_exception_fp_ieee_inexact 0
		.amdhsa_exception_int_div_zero 0
	.end_amdhsa_kernel
	.section	.text._ZN2at6native32elementwise_kernel_manual_unrollILi128ELi4EZNS0_15gpu_kernel_implIZZZNS0_12_GLOBAL__N_124renorm_scale_factor_implERNS_18TensorIteratorBaseEdENKUlvE_clEvENKUlvE0_clEvEUlfE_EEvS5_RKT_EUlibE_EEviT1_,"axG",@progbits,_ZN2at6native32elementwise_kernel_manual_unrollILi128ELi4EZNS0_15gpu_kernel_implIZZZNS0_12_GLOBAL__N_124renorm_scale_factor_implERNS_18TensorIteratorBaseEdENKUlvE_clEvENKUlvE0_clEvEUlfE_EEvS5_RKT_EUlibE_EEviT1_,comdat
.Lfunc_end14:
	.size	_ZN2at6native32elementwise_kernel_manual_unrollILi128ELi4EZNS0_15gpu_kernel_implIZZZNS0_12_GLOBAL__N_124renorm_scale_factor_implERNS_18TensorIteratorBaseEdENKUlvE_clEvENKUlvE0_clEvEUlfE_EEvS5_RKT_EUlibE_EEviT1_, .Lfunc_end14-_ZN2at6native32elementwise_kernel_manual_unrollILi128ELi4EZNS0_15gpu_kernel_implIZZZNS0_12_GLOBAL__N_124renorm_scale_factor_implERNS_18TensorIteratorBaseEdENKUlvE_clEvENKUlvE0_clEvEUlfE_EEvS5_RKT_EUlibE_EEviT1_
                                        ; -- End function
	.set _ZN2at6native32elementwise_kernel_manual_unrollILi128ELi4EZNS0_15gpu_kernel_implIZZZNS0_12_GLOBAL__N_124renorm_scale_factor_implERNS_18TensorIteratorBaseEdENKUlvE_clEvENKUlvE0_clEvEUlfE_EEvS5_RKT_EUlibE_EEviT1_.num_vgpr, 12
	.set _ZN2at6native32elementwise_kernel_manual_unrollILi128ELi4EZNS0_15gpu_kernel_implIZZZNS0_12_GLOBAL__N_124renorm_scale_factor_implERNS_18TensorIteratorBaseEdENKUlvE_clEvENKUlvE0_clEvEUlfE_EEvS5_RKT_EUlibE_EEviT1_.num_agpr, 0
	.set _ZN2at6native32elementwise_kernel_manual_unrollILi128ELi4EZNS0_15gpu_kernel_implIZZZNS0_12_GLOBAL__N_124renorm_scale_factor_implERNS_18TensorIteratorBaseEdENKUlvE_clEvENKUlvE0_clEvEUlfE_EEvS5_RKT_EUlibE_EEviT1_.numbered_sgpr, 45
	.set _ZN2at6native32elementwise_kernel_manual_unrollILi128ELi4EZNS0_15gpu_kernel_implIZZZNS0_12_GLOBAL__N_124renorm_scale_factor_implERNS_18TensorIteratorBaseEdENKUlvE_clEvENKUlvE0_clEvEUlfE_EEvS5_RKT_EUlibE_EEviT1_.num_named_barrier, 0
	.set _ZN2at6native32elementwise_kernel_manual_unrollILi128ELi4EZNS0_15gpu_kernel_implIZZZNS0_12_GLOBAL__N_124renorm_scale_factor_implERNS_18TensorIteratorBaseEdENKUlvE_clEvENKUlvE0_clEvEUlfE_EEvS5_RKT_EUlibE_EEviT1_.private_seg_size, 0
	.set _ZN2at6native32elementwise_kernel_manual_unrollILi128ELi4EZNS0_15gpu_kernel_implIZZZNS0_12_GLOBAL__N_124renorm_scale_factor_implERNS_18TensorIteratorBaseEdENKUlvE_clEvENKUlvE0_clEvEUlfE_EEvS5_RKT_EUlibE_EEviT1_.uses_vcc, 1
	.set _ZN2at6native32elementwise_kernel_manual_unrollILi128ELi4EZNS0_15gpu_kernel_implIZZZNS0_12_GLOBAL__N_124renorm_scale_factor_implERNS_18TensorIteratorBaseEdENKUlvE_clEvENKUlvE0_clEvEUlfE_EEvS5_RKT_EUlibE_EEviT1_.uses_flat_scratch, 0
	.set _ZN2at6native32elementwise_kernel_manual_unrollILi128ELi4EZNS0_15gpu_kernel_implIZZZNS0_12_GLOBAL__N_124renorm_scale_factor_implERNS_18TensorIteratorBaseEdENKUlvE_clEvENKUlvE0_clEvEUlfE_EEvS5_RKT_EUlibE_EEviT1_.has_dyn_sized_stack, 0
	.set _ZN2at6native32elementwise_kernel_manual_unrollILi128ELi4EZNS0_15gpu_kernel_implIZZZNS0_12_GLOBAL__N_124renorm_scale_factor_implERNS_18TensorIteratorBaseEdENKUlvE_clEvENKUlvE0_clEvEUlfE_EEvS5_RKT_EUlibE_EEviT1_.has_recursion, 0
	.set _ZN2at6native32elementwise_kernel_manual_unrollILi128ELi4EZNS0_15gpu_kernel_implIZZZNS0_12_GLOBAL__N_124renorm_scale_factor_implERNS_18TensorIteratorBaseEdENKUlvE_clEvENKUlvE0_clEvEUlfE_EEvS5_RKT_EUlibE_EEviT1_.has_indirect_call, 0
	.section	.AMDGPU.csdata,"",@progbits
; Kernel info:
; codeLenInByte = 32984
; TotalNumSgprs: 49
; NumVgprs: 12
; ScratchSize: 0
; MemoryBound: 1
; FloatMode: 240
; IeeeMode: 1
; LDSByteSize: 0 bytes/workgroup (compile time only)
; SGPRBlocks: 6
; VGPRBlocks: 2
; NumSGPRsForWavesPerEU: 49
; NumVGPRsForWavesPerEU: 12
; Occupancy: 10
; WaveLimiterHint : 0
; COMPUTE_PGM_RSRC2:SCRATCH_EN: 0
; COMPUTE_PGM_RSRC2:USER_SGPR: 6
; COMPUTE_PGM_RSRC2:TRAP_HANDLER: 0
; COMPUTE_PGM_RSRC2:TGID_X_EN: 1
; COMPUTE_PGM_RSRC2:TGID_Y_EN: 0
; COMPUTE_PGM_RSRC2:TGID_Z_EN: 0
; COMPUTE_PGM_RSRC2:TIDIG_COMP_CNT: 0
	.section	.text._ZN2at6native32elementwise_kernel_manual_unrollILi128ELi4EZNS0_15gpu_kernel_implIZZZNS0_12_GLOBAL__N_124renorm_scale_factor_implERNS_18TensorIteratorBaseEdENKUlvE_clEvENKUlvE0_clEvEUlfE_EEvS5_RKT_EUlibE0_EEviT1_,"axG",@progbits,_ZN2at6native32elementwise_kernel_manual_unrollILi128ELi4EZNS0_15gpu_kernel_implIZZZNS0_12_GLOBAL__N_124renorm_scale_factor_implERNS_18TensorIteratorBaseEdENKUlvE_clEvENKUlvE0_clEvEUlfE_EEvS5_RKT_EUlibE0_EEviT1_,comdat
	.globl	_ZN2at6native32elementwise_kernel_manual_unrollILi128ELi4EZNS0_15gpu_kernel_implIZZZNS0_12_GLOBAL__N_124renorm_scale_factor_implERNS_18TensorIteratorBaseEdENKUlvE_clEvENKUlvE0_clEvEUlfE_EEvS5_RKT_EUlibE0_EEviT1_ ; -- Begin function _ZN2at6native32elementwise_kernel_manual_unrollILi128ELi4EZNS0_15gpu_kernel_implIZZZNS0_12_GLOBAL__N_124renorm_scale_factor_implERNS_18TensorIteratorBaseEdENKUlvE_clEvENKUlvE0_clEvEUlfE_EEvS5_RKT_EUlibE0_EEviT1_
	.p2align	8
	.type	_ZN2at6native32elementwise_kernel_manual_unrollILi128ELi4EZNS0_15gpu_kernel_implIZZZNS0_12_GLOBAL__N_124renorm_scale_factor_implERNS_18TensorIteratorBaseEdENKUlvE_clEvENKUlvE0_clEvEUlfE_EEvS5_RKT_EUlibE0_EEviT1_,@function
_ZN2at6native32elementwise_kernel_manual_unrollILi128ELi4EZNS0_15gpu_kernel_implIZZZNS0_12_GLOBAL__N_124renorm_scale_factor_implERNS_18TensorIteratorBaseEdENKUlvE_clEvENKUlvE0_clEvEUlfE_EEvS5_RKT_EUlibE0_EEviT1_: ; @_ZN2at6native32elementwise_kernel_manual_unrollILi128ELi4EZNS0_15gpu_kernel_implIZZZNS0_12_GLOBAL__N_124renorm_scale_factor_implERNS_18TensorIteratorBaseEdENKUlvE_clEvENKUlvE0_clEvEUlfE_EEvS5_RKT_EUlibE0_EEviT1_
; %bb.0:
	s_load_dword s72, s[4:5], 0x0
	s_load_dword s33, s[4:5], 0x8
	s_add_u32 s34, s4, 8
	s_addc_u32 s35, s5, 0
	v_lshl_or_b32 v8, s6, 9, v0
	v_or_b32_e32 v14, 0x180, v8
	s_waitcnt lgkmcnt(0)
	s_add_i32 s74, s33, -1
	s_cmp_gt_u32 s74, 1
	v_cmp_le_i32_e32 vcc, s72, v14
	s_cselect_b64 s[40:41], -1, 0
	s_mov_b64 s[6:7], 0
	s_mov_b64 s[28:29], 0
	s_and_saveexec_b64 s[0:1], vcc
	s_xor_b64 s[42:43], exec, s[0:1]
	s_cbranch_execz .LBB15_1094
; %bb.1:
	s_load_dwordx4 s[28:31], s[34:35], 0x4
	s_load_dwordx2 s[46:47], s[34:35], 0x14
	s_load_dwordx2 s[44:45], s[34:35], 0x158
	s_cmp_lg_u32 s33, 0
	s_load_dwordx4 s[36:39], s[34:35], 0xc4
	s_load_dwordx4 s[24:27], s[34:35], 0x148
	s_cselect_b64 s[52:53], -1, 0
	s_add_u32 s50, s34, 0xc4
	s_addc_u32 s51, s35, 0
	s_min_u32 s76, s74, 15
	s_cmp_gt_u32 s33, 1
	s_cselect_b64 s[48:49], -1, 0
	s_waitcnt lgkmcnt(0)
	s_bfe_u32 s75, s45, 0x80008
	v_cmp_gt_i32_e32 vcc, s72, v8
	s_mov_b64 s[2:3], -1
	s_mov_b64 s[62:63], 0
	s_mov_b64 s[56:57], 0
	;; [unrolled: 1-line block ×3, first 2 shown]
	s_and_saveexec_b64 s[58:59], vcc
	s_cbranch_execz .LBB15_268
; %bb.2:
	s_andn2_b64 vcc, exec, s[40:41]
	s_cbranch_vccnz .LBB15_7
; %bb.3:
	s_andn2_b64 vcc, exec, s[52:53]
	s_cbranch_vccnz .LBB15_8
; %bb.4:
	s_add_i32 s61, s76, 1
	s_cmp_eq_u32 s74, 2
	s_cbranch_scc1 .LBB15_9
; %bb.5:
	s_and_b32 s60, s61, 28
	v_mov_b32_e32 v2, 0
	s_mov_b32 s64, 0
	s_mov_b64 s[54:55], s[34:35]
	s_mov_b64 s[56:57], s[50:51]
	v_mov_b32_e32 v0, 0
	v_mov_b32_e32 v1, v8
.LBB15_6:                               ; =>This Inner Loop Header: Depth=1
	s_load_dwordx8 s[16:23], s[54:55], 0x4
	s_load_dwordx4 s[0:3], s[54:55], 0x24
	s_load_dwordx8 s[8:15], s[56:57], 0x0
	s_add_u32 s54, s54, 48
	s_addc_u32 s55, s55, 0
	s_waitcnt lgkmcnt(0)
	v_mul_hi_u32 v3, s17, v1
	s_add_i32 s64, s64, 4
	s_add_u32 s56, s56, 32
	s_addc_u32 s57, s57, 0
	v_add_u32_e32 v3, v1, v3
	v_lshrrev_b32_e32 v3, s18, v3
	v_mul_lo_u32 v4, v3, s16
	v_mul_hi_u32 v5, s20, v3
	s_cmp_lg_u32 s60, s64
	v_sub_u32_e32 v1, v1, v4
	v_add_u32_e32 v4, v3, v5
	v_mul_lo_u32 v5, v1, s8
	v_mul_lo_u32 v6, v1, s9
	v_lshrrev_b32_e32 v1, s21, v4
	v_mul_lo_u32 v4, v1, s19
	v_mul_hi_u32 v7, s23, v1
	v_sub_u32_e32 v3, v3, v4
	v_add_u32_e32 v4, v1, v7
	v_lshrrev_b32_e32 v4, s0, v4
	v_mul_hi_u32 v9, s2, v4
	v_mul_lo_u32 v10, v4, s22
	v_mul_lo_u32 v7, v3, s10
	v_mul_lo_u32 v3, v3, s11
	v_sub_u32_e32 v10, v1, v10
	v_add_u32_e32 v1, v4, v9
	v_lshrrev_b32_e32 v1, s3, v1
	v_mul_lo_u32 v9, v1, s1
	v_mul_lo_u32 v11, v10, s12
	;; [unrolled: 1-line block ×3, first 2 shown]
	v_add3_u32 v0, v5, v0, v7
	v_sub_u32_e32 v4, v4, v9
	v_mul_lo_u32 v9, v4, s14
	v_mul_lo_u32 v4, v4, s15
	v_add3_u32 v2, v6, v2, v3
	v_add3_u32 v0, v11, v0, v9
	v_add3_u32 v2, v10, v2, v4
	s_cbranch_scc1 .LBB15_6
	s_branch .LBB15_10
.LBB15_7:
                                        ; implicit-def: $vgpr0
                                        ; implicit-def: $vgpr2
	s_branch .LBB15_14
.LBB15_8:
	v_mov_b32_e32 v0, 0
	v_mov_b32_e32 v2, 0
	s_branch .LBB15_13
.LBB15_9:
	s_mov_b32 s60, 0
	v_mov_b32_e32 v0, 0
	v_mov_b32_e32 v2, 0
	;; [unrolled: 1-line block ×3, first 2 shown]
.LBB15_10:
	s_and_b32 s8, s61, 3
	s_cmp_eq_u32 s8, 0
	s_cbranch_scc1 .LBB15_13
; %bb.11:
	s_lshl_b32 s0, s60, 3
	s_add_u32 s0, s34, s0
	s_addc_u32 s1, s35, 0
	s_add_u32 s0, s0, 0xc4
	s_addc_u32 s1, s1, 0
	s_mul_i32 s2, s60, 12
	s_add_u32 s2, s34, s2
	s_addc_u32 s3, s35, 0
.LBB15_12:                              ; =>This Inner Loop Header: Depth=1
	s_load_dwordx2 s[10:11], s[2:3], 0x4
	s_load_dword s9, s[2:3], 0xc
	s_load_dwordx2 s[12:13], s[0:1], 0x0
	s_add_u32 s2, s2, 12
	s_addc_u32 s3, s3, 0
	s_waitcnt lgkmcnt(0)
	v_mul_hi_u32 v3, s11, v1
	s_add_u32 s0, s0, 8
	s_addc_u32 s1, s1, 0
	s_add_i32 s8, s8, -1
	v_add_u32_e32 v3, v1, v3
	v_lshrrev_b32_e32 v4, s9, v3
	v_mul_lo_u32 v3, v4, s10
	s_cmp_lg_u32 s8, 0
	v_sub_u32_e32 v3, v1, v3
	v_mad_u64_u32 v[0:1], s[10:11], v3, s12, v[0:1]
	v_mad_u64_u32 v[2:3], s[10:11], v3, s13, v[2:3]
	v_mov_b32_e32 v1, v4
	s_cbranch_scc1 .LBB15_12
.LBB15_13:
	s_cbranch_execnz .LBB15_16
.LBB15_14:
	v_mul_hi_u32 v0, s29, v8
	s_andn2_b64 vcc, exec, s[48:49]
	v_add_u32_e32 v0, v8, v0
	v_lshrrev_b32_e32 v1, s30, v0
	v_mul_lo_u32 v0, v1, s28
	v_sub_u32_e32 v2, v8, v0
	v_mul_lo_u32 v0, v2, s36
	v_mul_lo_u32 v2, v2, s37
	s_cbranch_vccnz .LBB15_16
; %bb.15:
	v_mul_hi_u32 v3, s46, v1
	v_add_u32_e32 v3, v1, v3
	v_lshrrev_b32_e32 v3, s47, v3
	v_mul_lo_u32 v3, v3, s31
	v_sub_u32_e32 v3, v1, v3
	v_mad_u64_u32 v[0:1], s[0:1], v3, s38, v[0:1]
	v_mad_u64_u32 v[2:3], s[0:1], v3, s39, v[2:3]
.LBB15_16:
	v_mov_b32_e32 v3, s27
	s_and_b32 s12, 0xffff, s75
	v_add_co_u32_e32 v1, vcc, s26, v2
	s_cmp_lt_i32 s12, 11
	v_addc_co_u32_e32 v2, vcc, 0, v3, vcc
	s_cbranch_scc1 .LBB15_23
; %bb.17:
	s_cmp_gt_i32 s12, 25
	s_cbranch_scc0 .LBB15_34
; %bb.18:
	s_cmp_gt_i32 s12, 28
	s_cbranch_scc0 .LBB15_37
	;; [unrolled: 3-line block ×4, first 2 shown]
; %bb.21:
	s_cmp_eq_u32 s12, 46
	s_mov_b64 s[8:9], 0
	s_cbranch_scc0 .LBB15_43
; %bb.22:
	global_load_dword v3, v[1:2], off
	s_mov_b64 s[0:1], -1
	s_mov_b64 s[2:3], 0
	s_waitcnt vmcnt(0)
	v_lshlrev_b32_e32 v3, 16, v3
	s_branch .LBB15_45
.LBB15_23:
	s_mov_b64 s[2:3], 0
                                        ; implicit-def: $vgpr3
	s_mov_b64 s[0:1], 0
	s_cbranch_execnz .LBB15_218
.LBB15_24:
	s_andn2_b64 vcc, exec, s[0:1]
	s_cbranch_vccnz .LBB15_265
.LBB15_25:
	s_waitcnt vmcnt(0)
	v_cmp_lt_f32_e32 vcc, s44, v3
	v_mov_b32_e32 v1, 1.0
	s_and_saveexec_b64 s[0:1], vcc
	s_cbranch_execz .LBB15_27
; %bb.26:
	v_add_f32_e32 v1, 0x33d6bf95, v3
	v_div_scale_f32 v2, s[8:9], v1, v1, s44
	v_div_scale_f32 v3, vcc, s44, v1, s44
	v_rcp_f32_e32 v4, v2
	v_fma_f32 v5, -v2, v4, 1.0
	v_fmac_f32_e32 v4, v5, v4
	v_mul_f32_e32 v5, v3, v4
	v_fma_f32 v6, -v2, v5, v3
	v_fmac_f32_e32 v5, v6, v4
	v_fma_f32 v2, -v2, v5, v3
	v_div_fmas_f32 v2, v2, v4, v5
	v_div_fixup_f32 v1, v2, v1, s44
.LBB15_27:
	s_or_b64 exec, exec, s[0:1]
	v_mov_b32_e32 v2, s25
	s_and_b32 s14, s45, 0xff
	v_add_co_u32_e32 v3, vcc, s24, v0
	s_cmp_lt_i32 s14, 11
	v_addc_co_u32_e32 v4, vcc, 0, v2, vcc
	s_cbranch_scc1 .LBB15_35
; %bb.28:
	s_and_b32 s15, 0xffff, s14
	s_cmp_gt_i32 s15, 25
	s_cbranch_scc0 .LBB15_38
; %bb.29:
	s_cmp_gt_i32 s15, 28
	s_cbranch_scc0 .LBB15_40
; %bb.30:
	;; [unrolled: 3-line block ×4, first 2 shown]
	s_mov_b64 s[10:11], 0
	s_mov_b64 s[0:1], -1
	s_cmp_eq_u32 s15, 46
	s_mov_b64 s[8:9], 0
	s_cbranch_scc0 .LBB15_49
; %bb.33:
	v_bfe_u32 v0, v1, 16, 1
	s_movk_i32 s0, 0x7fff
	v_add3_u32 v0, v1, v0, s0
	v_cmp_o_f32_e32 vcc, v1, v1
	v_mov_b32_e32 v2, 0x7fc0
	v_cndmask_b32_sdwa v0, v2, v0, vcc dst_sel:DWORD dst_unused:UNUSED_PAD src0_sel:DWORD src1_sel:WORD_1
	global_store_dword v[3:4], v0, off
	s_mov_b64 s[8:9], -1
	s_mov_b64 s[0:1], 0
	s_branch .LBB15_49
.LBB15_34:
	s_mov_b64 s[2:3], 0
	s_mov_b64 s[0:1], 0
                                        ; implicit-def: $vgpr3
	s_cbranch_execnz .LBB15_183
	s_branch .LBB15_217
.LBB15_35:
	s_mov_b64 s[0:1], 0
	s_mov_b64 s[8:9], 0
	s_cbranch_execnz .LBB15_118
.LBB15_36:
	s_andn2_b64 vcc, exec, s[8:9]
	s_cbranch_vccnz .LBB15_266
	s_branch .LBB15_156
.LBB15_37:
	s_mov_b64 s[8:9], -1
	s_mov_b64 s[2:3], 0
	s_mov_b64 s[0:1], 0
                                        ; implicit-def: $vgpr3
	s_branch .LBB15_164
.LBB15_38:
	s_mov_b64 s[10:11], -1
	s_mov_b64 s[0:1], 0
	s_mov_b64 s[8:9], 0
	s_branch .LBB15_76
.LBB15_39:
	s_mov_b64 s[8:9], -1
	s_mov_b64 s[2:3], 0
	s_mov_b64 s[0:1], 0
                                        ; implicit-def: $vgpr3
	s_branch .LBB15_159
.LBB15_40:
	s_mov_b64 s[10:11], -1
	s_mov_b64 s[0:1], 0
	s_mov_b64 s[8:9], 0
	s_branch .LBB15_59
.LBB15_41:
	s_mov_b64 s[8:9], -1
	s_mov_b64 s[2:3], 0
	s_branch .LBB15_44
.LBB15_42:
	s_mov_b64 s[10:11], -1
	s_mov_b64 s[0:1], 0
	s_mov_b64 s[8:9], 0
	s_branch .LBB15_55
.LBB15_43:
	s_mov_b64 s[2:3], -1
.LBB15_44:
	s_mov_b64 s[0:1], 0
                                        ; implicit-def: $vgpr3
.LBB15_45:
	s_and_b64 vcc, exec, s[8:9]
	s_cbranch_vccz .LBB15_158
; %bb.46:
	s_cmp_eq_u32 s12, 44
	s_cbranch_scc0 .LBB15_157
; %bb.47:
	global_load_ubyte v3, v[1:2], off
	s_movk_i32 s2, 0xff
	v_mov_b32_e32 v4, 0x7f800001
	v_mov_b32_e32 v5, 0x400000
	s_mov_b64 s[0:1], -1
	s_waitcnt vmcnt(0)
	v_lshlrev_b32_e32 v6, 23, v3
	v_cmp_ne_u32_e32 vcc, s2, v3
	v_cndmask_b32_e32 v4, v4, v6, vcc
	v_cmp_ne_u32_e32 vcc, 0, v3
	v_cndmask_b32_e32 v3, v5, v4, vcc
	s_mov_b64 s[2:3], 0
	s_branch .LBB15_158
.LBB15_48:
	s_mov_b64 s[10:11], -1
	s_mov_b64 s[0:1], 0
	s_mov_b64 s[8:9], 0
.LBB15_49:
	s_and_b64 vcc, exec, s[10:11]
	s_cbranch_vccz .LBB15_54
; %bb.50:
	s_cmp_eq_u32 s15, 44
	s_mov_b64 s[0:1], -1
	s_cbranch_scc0 .LBB15_54
; %bb.51:
	v_bfe_u32 v0, v1, 23, 8
	s_movk_i32 s0, 0xff
	v_cmp_ne_u32_e32 vcc, s0, v0
	v_mov_b32_e32 v2, 0xff
	s_and_saveexec_b64 s[8:9], vcc
; %bb.52:
	s_mov_b32 s0, 0x3fffff
	v_and_b32_e32 v5, 0x400000, v1
	v_and_or_b32 v0, v1, s0, v0
	v_cmp_ne_u32_e32 vcc, 0, v5
	v_cmp_ne_u32_e64 s[0:1], 0, v0
	s_and_b64 s[0:1], vcc, s[0:1]
	v_lshrrev_b32_e32 v2, 23, v1
	v_cndmask_b32_e64 v0, 0, 1, s[0:1]
	v_add_u32_e32 v2, v2, v0
; %bb.53:
	s_or_b64 exec, exec, s[8:9]
	s_mov_b64 s[8:9], -1
	s_mov_b64 s[0:1], 0
	global_store_byte v[3:4], v2, off
.LBB15_54:
	s_mov_b64 s[10:11], 0
.LBB15_55:
	s_and_b64 vcc, exec, s[10:11]
	s_cbranch_vccz .LBB15_58
; %bb.56:
	s_cmp_eq_u32 s15, 29
	s_mov_b64 s[0:1], -1
	s_cbranch_scc0 .LBB15_58
; %bb.57:
	v_trunc_f32_e32 v0, v1
	v_mul_f32_e32 v2, 0x2f800000, v0
	v_floor_f32_e32 v2, v2
	v_fmac_f32_e32 v0, 0xcf800000, v2
	v_cvt_u32_f32_e32 v6, v2
	v_cvt_u32_f32_e32 v5, v0
	s_mov_b64 s[8:9], -1
	s_mov_b64 s[0:1], 0
	s_mov_b64 s[10:11], 0
	global_store_dwordx2 v[3:4], v[5:6], off
	s_branch .LBB15_59
.LBB15_58:
	s_mov_b64 s[10:11], 0
.LBB15_59:
	s_and_b64 vcc, exec, s[10:11]
	s_cbranch_vccz .LBB15_75
; %bb.60:
	s_cmp_lt_i32 s15, 27
	s_mov_b64 s[8:9], -1
	s_cbranch_scc1 .LBB15_66
; %bb.61:
	v_cvt_u32_f32_e32 v0, v1
	s_cmp_gt_i32 s15, 27
	s_cbranch_scc0 .LBB15_63
; %bb.62:
	s_mov_b64 s[8:9], 0
	global_store_dword v[3:4], v0, off
.LBB15_63:
	s_andn2_b64 vcc, exec, s[8:9]
	s_cbranch_vccnz .LBB15_65
; %bb.64:
	global_store_short v[3:4], v0, off
.LBB15_65:
	s_mov_b64 s[8:9], 0
.LBB15_66:
	s_andn2_b64 vcc, exec, s[8:9]
	s_cbranch_vccnz .LBB15_74
; %bb.67:
	v_and_b32_e32 v0, 0x7fffffff, v1
	s_mov_b32 s8, 0x43800000
	v_cmp_gt_u32_e32 vcc, s8, v0
	v_mov_b32_e32 v2, 0x80
	s_and_saveexec_b64 s[8:9], vcc
	s_cbranch_execz .LBB15_73
; %bb.68:
	s_mov_b32 s10, 0x3bffffff
	v_cmp_lt_u32_e32 vcc, s10, v0
	s_mov_b64 s[10:11], 0
                                        ; implicit-def: $vgpr0
	s_and_saveexec_b64 s[12:13], vcc
	s_xor_b64 s[12:13], exec, s[12:13]
	s_cbranch_execz .LBB15_311
; %bb.69:
	v_bfe_u32 v0, v1, 20, 1
	s_mov_b32 s16, 0x487ffff
	v_add3_u32 v0, v1, v0, s16
	s_mov_b64 s[10:11], exec
	v_lshrrev_b32_e32 v0, 20, v0
	s_andn2_saveexec_b64 s[12:13], s[12:13]
	s_cbranch_execnz .LBB15_312
.LBB15_70:
	s_or_b64 exec, exec, s[12:13]
	v_mov_b32_e32 v2, 0
	s_and_saveexec_b64 s[12:13], s[10:11]
.LBB15_71:
	v_lshrrev_b32_e32 v2, 24, v1
	s_movk_i32 s10, 0x80
	v_and_or_b32 v2, v2, s10, v0
.LBB15_72:
	s_or_b64 exec, exec, s[12:13]
.LBB15_73:
	s_or_b64 exec, exec, s[8:9]
	global_store_byte v[3:4], v2, off
.LBB15_74:
	s_mov_b64 s[8:9], -1
.LBB15_75:
	s_mov_b64 s[10:11], 0
.LBB15_76:
	s_and_b64 vcc, exec, s[10:11]
	s_cbranch_vccz .LBB15_117
; %bb.77:
	s_cmp_gt_i32 s15, 22
	s_mov_b64 s[10:11], -1
	s_cbranch_scc0 .LBB15_109
; %bb.78:
	s_cmp_lt_i32 s15, 24
	s_mov_b64 s[8:9], -1
	s_cbranch_scc1 .LBB15_98
; %bb.79:
	s_cmp_gt_i32 s15, 24
	s_cbranch_scc0 .LBB15_87
; %bb.80:
	v_and_b32_e32 v0, 0x7fffffff, v1
	s_mov_b32 s8, 0x47800000
	v_cmp_gt_u32_e32 vcc, s8, v0
	v_mov_b32_e32 v2, 0x80
	s_and_saveexec_b64 s[8:9], vcc
	s_cbranch_execz .LBB15_86
; %bb.81:
	s_mov_b32 s10, 0x37ffffff
	v_cmp_lt_u32_e32 vcc, s10, v0
	s_mov_b64 s[10:11], 0
                                        ; implicit-def: $vgpr0
	s_and_saveexec_b64 s[12:13], vcc
	s_xor_b64 s[12:13], exec, s[12:13]
	s_cbranch_execz .LBB15_315
; %bb.82:
	v_bfe_u32 v0, v1, 21, 1
	s_mov_b32 s16, 0x88fffff
	v_add3_u32 v0, v1, v0, s16
	s_mov_b64 s[10:11], exec
	v_lshrrev_b32_e32 v0, 21, v0
	s_andn2_saveexec_b64 s[12:13], s[12:13]
	s_cbranch_execnz .LBB15_316
.LBB15_83:
	s_or_b64 exec, exec, s[12:13]
	v_mov_b32_e32 v2, 0
	s_and_saveexec_b64 s[12:13], s[10:11]
.LBB15_84:
	v_lshrrev_b32_e32 v2, 24, v1
	s_movk_i32 s10, 0x80
	v_and_or_b32 v2, v2, s10, v0
.LBB15_85:
	s_or_b64 exec, exec, s[12:13]
.LBB15_86:
	s_or_b64 exec, exec, s[8:9]
	s_mov_b64 s[8:9], 0
	global_store_byte v[3:4], v2, off
.LBB15_87:
	s_and_b64 vcc, exec, s[8:9]
	s_cbranch_vccz .LBB15_97
; %bb.88:
	v_and_b32_e32 v2, 0x7fffffff, v1
	s_mov_b32 s8, 0x43f00000
	v_cmp_gt_u32_e32 vcc, s8, v2
                                        ; implicit-def: $vgpr0
	s_and_saveexec_b64 s[8:9], vcc
	s_xor_b64 s[8:9], exec, s[8:9]
	s_cbranch_execz .LBB15_94
; %bb.89:
	s_mov_b32 s10, 0x3c7fffff
	v_cmp_lt_u32_e32 vcc, s10, v2
                                        ; implicit-def: $vgpr0
	s_and_saveexec_b64 s[10:11], vcc
	s_xor_b64 s[10:11], exec, s[10:11]
; %bb.90:
	v_bfe_u32 v0, v1, 20, 1
	s_mov_b32 s12, 0x407ffff
	v_add3_u32 v0, v1, v0, s12
	v_lshrrev_b32_e32 v2, 20, v0
	v_and_b32_e32 v0, 0xff00000, v0
	s_mov_b32 s12, 0x7f00000
	v_mov_b32_e32 v5, 0x7e
	v_cmp_ne_u32_e32 vcc, s12, v0
	v_cndmask_b32_e32 v0, v5, v2, vcc
; %bb.91:
	s_andn2_saveexec_b64 s[10:11], s[10:11]
; %bb.92:
	s_mov_b32 s12, 0x46800000
	v_add_f32_e64 v0, |v1|, s12
; %bb.93:
	s_or_b64 exec, exec, s[10:11]
                                        ; implicit-def: $vgpr2
.LBB15_94:
	s_andn2_saveexec_b64 s[8:9], s[8:9]
; %bb.95:
	s_mov_b32 s10, 0x7f800000
	v_mov_b32_e32 v0, 0x7e
	v_mov_b32_e32 v5, 0x7f
	v_cmp_lt_u32_e32 vcc, s10, v2
	v_cndmask_b32_e32 v0, v0, v5, vcc
; %bb.96:
	s_or_b64 exec, exec, s[8:9]
	v_lshrrev_b32_e32 v2, 24, v1
	s_movk_i32 s8, 0x80
	v_and_or_b32 v0, v2, s8, v0
	global_store_byte v[3:4], v0, off
.LBB15_97:
	s_mov_b64 s[8:9], 0
.LBB15_98:
	s_andn2_b64 vcc, exec, s[8:9]
	s_cbranch_vccnz .LBB15_108
; %bb.99:
	v_and_b32_e32 v2, 0x7fffffff, v1
	s_mov_b32 s8, 0x47800000
	v_cmp_gt_u32_e32 vcc, s8, v2
                                        ; implicit-def: $vgpr0
	s_and_saveexec_b64 s[8:9], vcc
	s_xor_b64 s[8:9], exec, s[8:9]
	s_cbranch_execz .LBB15_105
; %bb.100:
	s_mov_b32 s10, 0x387fffff
	v_cmp_lt_u32_e32 vcc, s10, v2
                                        ; implicit-def: $vgpr0
	s_and_saveexec_b64 s[10:11], vcc
	s_xor_b64 s[10:11], exec, s[10:11]
; %bb.101:
	v_bfe_u32 v0, v1, 21, 1
	s_mov_b32 s12, 0x80fffff
	v_add3_u32 v0, v1, v0, s12
	v_lshrrev_b32_e32 v0, 21, v0
; %bb.102:
	s_andn2_saveexec_b64 s[10:11], s[10:11]
; %bb.103:
	s_mov_b32 s12, 0x43000000
	v_add_f32_e64 v0, |v1|, s12
; %bb.104:
	s_or_b64 exec, exec, s[10:11]
                                        ; implicit-def: $vgpr2
.LBB15_105:
	s_andn2_saveexec_b64 s[8:9], s[8:9]
; %bb.106:
	s_mov_b32 s10, 0x7f800000
	v_mov_b32_e32 v0, 0x7c
	v_mov_b32_e32 v5, 0x7f
	v_cmp_lt_u32_e32 vcc, s10, v2
	v_cndmask_b32_e32 v0, v0, v5, vcc
; %bb.107:
	s_or_b64 exec, exec, s[8:9]
	v_lshrrev_b32_e32 v2, 24, v1
	s_movk_i32 s8, 0x80
	v_and_or_b32 v0, v2, s8, v0
	global_store_byte v[3:4], v0, off
.LBB15_108:
	s_mov_b64 s[10:11], 0
	s_mov_b64 s[8:9], -1
.LBB15_109:
	s_andn2_b64 vcc, exec, s[10:11]
	s_cbranch_vccnz .LBB15_117
; %bb.110:
	s_cmp_gt_i32 s15, 14
	s_mov_b64 s[10:11], -1
	s_cbranch_scc0 .LBB15_114
; %bb.111:
	s_cmp_eq_u32 s15, 15
	s_mov_b64 s[0:1], -1
	s_cbranch_scc0 .LBB15_113
; %bb.112:
	v_bfe_u32 v0, v1, 16, 1
	s_movk_i32 s0, 0x7fff
	v_add3_u32 v0, v1, v0, s0
	v_cmp_o_f32_e32 vcc, v1, v1
	v_mov_b32_e32 v2, 0x7fc0
	v_cndmask_b32_sdwa v0, v2, v0, vcc dst_sel:DWORD dst_unused:UNUSED_PAD src0_sel:DWORD src1_sel:WORD_1
	global_store_short v[3:4], v0, off
	s_mov_b64 s[8:9], -1
	s_mov_b64 s[0:1], 0
.LBB15_113:
	s_mov_b64 s[10:11], 0
.LBB15_114:
	s_and_b64 vcc, exec, s[10:11]
	s_cbranch_vccz .LBB15_117
; %bb.115:
	s_cmp_eq_u32 s15, 11
	s_mov_b64 s[0:1], -1
	s_cbranch_scc0 .LBB15_117
; %bb.116:
	v_cmp_neq_f32_e32 vcc, 0, v1
	v_cndmask_b32_e64 v0, 0, 1, vcc
	s_mov_b64 s[8:9], -1
	s_mov_b64 s[0:1], 0
	global_store_byte v[3:4], v0, off
.LBB15_117:
	s_branch .LBB15_36
.LBB15_118:
	s_and_b32 s10, 0xffff, s14
	s_cmp_lt_i32 s10, 5
	s_mov_b64 s[8:9], -1
	s_cbranch_scc1 .LBB15_139
; %bb.119:
	s_cmp_lt_i32 s10, 8
	s_cbranch_scc1 .LBB15_129
; %bb.120:
	s_cmp_lt_i32 s10, 9
	s_cbranch_scc1 .LBB15_126
; %bb.121:
	s_cmp_gt_i32 s10, 9
	s_cbranch_scc0 .LBB15_123
; %bb.122:
	v_cvt_f64_f32_e32 v[9:10], v1
	v_mov_b32_e32 v11, 0
	v_mov_b32_e32 v12, v11
	s_mov_b64 s[8:9], 0
	global_store_dwordx4 v[3:4], v[9:12], off
.LBB15_123:
	s_andn2_b64 vcc, exec, s[8:9]
	s_cbranch_vccnz .LBB15_125
; %bb.124:
	v_mov_b32_e32 v2, 0
	global_store_dwordx2 v[3:4], v[1:2], off
.LBB15_125:
	s_mov_b64 s[8:9], 0
.LBB15_126:
	s_andn2_b64 vcc, exec, s[8:9]
	s_cbranch_vccnz .LBB15_128
; %bb.127:
	v_cvt_f16_f32_e32 v0, v1
	global_store_dword v[3:4], v0, off
.LBB15_128:
	s_mov_b64 s[8:9], 0
.LBB15_129:
	s_andn2_b64 vcc, exec, s[8:9]
	s_cbranch_vccnz .LBB15_138
; %bb.130:
	s_cmp_lt_i32 s10, 6
	s_mov_b64 s[8:9], -1
	s_cbranch_scc1 .LBB15_136
; %bb.131:
	s_cmp_gt_i32 s10, 6
	s_cbranch_scc0 .LBB15_133
; %bb.132:
	v_cvt_f64_f32_e32 v[5:6], v1
	s_mov_b64 s[8:9], 0
	global_store_dwordx2 v[3:4], v[5:6], off
.LBB15_133:
	s_andn2_b64 vcc, exec, s[8:9]
	s_cbranch_vccnz .LBB15_135
; %bb.134:
	global_store_dword v[3:4], v1, off
.LBB15_135:
	s_mov_b64 s[8:9], 0
.LBB15_136:
	s_andn2_b64 vcc, exec, s[8:9]
	s_cbranch_vccnz .LBB15_138
; %bb.137:
	v_cvt_f16_f32_e32 v0, v1
	global_store_short v[3:4], v0, off
.LBB15_138:
	s_mov_b64 s[8:9], 0
.LBB15_139:
	s_andn2_b64 vcc, exec, s[8:9]
	s_cbranch_vccnz .LBB15_155
; %bb.140:
	s_cmp_lt_i32 s10, 2
	s_mov_b64 s[8:9], -1
	s_cbranch_scc1 .LBB15_150
; %bb.141:
	s_cmp_lt_i32 s10, 3
	s_cbranch_scc1 .LBB15_147
; %bb.142:
	s_cmp_gt_i32 s10, 3
	s_cbranch_scc0 .LBB15_144
; %bb.143:
	v_trunc_f32_e32 v0, v1
	s_mov_b32 s8, 0x2f800000
	v_mul_f32_e64 v2, |v0|, s8
	v_floor_f32_e32 v2, v2
	s_mov_b32 s8, 0xcf800000
	v_cvt_u32_f32_e32 v5, v2
	v_fma_f32 v2, v2, s8, |v0|
	v_cvt_u32_f32_e32 v2, v2
	v_ashrrev_i32_e32 v0, 31, v0
	v_xor_b32_e32 v6, v5, v0
	s_mov_b64 s[8:9], 0
	v_xor_b32_e32 v2, v2, v0
	v_sub_co_u32_e32 v5, vcc, v2, v0
	v_subb_co_u32_e32 v6, vcc, v6, v0, vcc
	global_store_dwordx2 v[3:4], v[5:6], off
.LBB15_144:
	s_andn2_b64 vcc, exec, s[8:9]
	s_cbranch_vccnz .LBB15_146
; %bb.145:
	v_cvt_i32_f32_e32 v0, v1
	global_store_dword v[3:4], v0, off
.LBB15_146:
	s_mov_b64 s[8:9], 0
.LBB15_147:
	s_andn2_b64 vcc, exec, s[8:9]
	s_cbranch_vccnz .LBB15_149
; %bb.148:
	v_cvt_i32_f32_e32 v0, v1
	global_store_short v[3:4], v0, off
.LBB15_149:
	s_mov_b64 s[8:9], 0
.LBB15_150:
	s_andn2_b64 vcc, exec, s[8:9]
	s_cbranch_vccnz .LBB15_155
; %bb.151:
	s_cmp_gt_i32 s10, 0
	s_mov_b64 s[8:9], -1
	s_cbranch_scc0 .LBB15_153
; %bb.152:
	v_cvt_i32_f32_e32 v0, v1
	s_mov_b64 s[8:9], 0
	global_store_byte v[3:4], v0, off
.LBB15_153:
	s_andn2_b64 vcc, exec, s[8:9]
	s_cbranch_vccnz .LBB15_155
; %bb.154:
	v_trunc_f32_e32 v0, v1
	s_mov_b32 s8, 0x2f800000
	v_mul_f32_e64 v1, |v0|, s8
	v_floor_f32_e32 v1, v1
	s_mov_b32 s8, 0xcf800000
	v_fma_f32 v1, v1, s8, |v0|
	v_cvt_u32_f32_e32 v1, v1
	v_ashrrev_i32_e32 v0, 31, v0
	v_xor_b32_e32 v1, v1, v0
	v_sub_u32_e32 v0, v1, v0
	global_store_byte v[3:4], v0, off
.LBB15_155:
.LBB15_156:
	v_add_u32_e32 v8, 0x80, v8
	s_mov_b64 s[8:9], -1
	s_branch .LBB15_267
.LBB15_157:
	s_mov_b64 s[2:3], -1
                                        ; implicit-def: $vgpr3
.LBB15_158:
	s_mov_b64 s[8:9], 0
.LBB15_159:
	s_and_b64 vcc, exec, s[8:9]
	s_cbranch_vccz .LBB15_163
; %bb.160:
	s_cmp_eq_u32 s12, 29
	s_cbranch_scc0 .LBB15_162
; %bb.161:
	global_load_dwordx2 v[3:4], v[1:2], off
	s_mov_b64 s[0:1], -1
	s_mov_b64 s[2:3], 0
	s_mov_b64 s[8:9], 0
	s_waitcnt vmcnt(0)
	v_ffbh_u32_e32 v5, v4
	v_min_u32_e32 v5, 32, v5
	v_lshlrev_b64 v[3:4], v5, v[3:4]
	v_min_u32_e32 v3, 1, v3
	v_or_b32_e32 v3, v4, v3
	v_cvt_f32_u32_e32 v3, v3
	v_sub_u32_e32 v4, 32, v5
	v_ldexp_f32 v3, v3, v4
	s_branch .LBB15_164
.LBB15_162:
	s_mov_b64 s[2:3], -1
                                        ; implicit-def: $vgpr3
.LBB15_163:
	s_mov_b64 s[8:9], 0
.LBB15_164:
	s_and_b64 vcc, exec, s[8:9]
	s_cbranch_vccz .LBB15_182
; %bb.165:
	s_cmp_lt_i32 s12, 27
	s_cbranch_scc1 .LBB15_168
; %bb.166:
	s_cmp_gt_i32 s12, 27
	s_cbranch_scc0 .LBB15_169
; %bb.167:
	global_load_dword v3, v[1:2], off
	s_mov_b64 s[0:1], 0
	s_waitcnt vmcnt(0)
	v_cvt_f32_u32_e32 v3, v3
	s_branch .LBB15_170
.LBB15_168:
	s_mov_b64 s[0:1], -1
                                        ; implicit-def: $vgpr3
	s_branch .LBB15_173
.LBB15_169:
	s_mov_b64 s[0:1], -1
                                        ; implicit-def: $vgpr3
.LBB15_170:
	s_andn2_b64 vcc, exec, s[0:1]
	s_cbranch_vccnz .LBB15_172
; %bb.171:
	global_load_ushort v3, v[1:2], off
	s_waitcnt vmcnt(0)
	v_cvt_f32_u32_e32 v3, v3
.LBB15_172:
	s_mov_b64 s[0:1], 0
.LBB15_173:
	s_andn2_b64 vcc, exec, s[0:1]
	s_cbranch_vccnz .LBB15_181
; %bb.174:
	global_load_ubyte v4, v[1:2], off
	s_movk_i32 s0, 0x7f
	s_waitcnt vmcnt(0)
	v_cmp_lt_i16_e32 vcc, s0, v4
	s_mov_b64 s[0:1], 0
	s_and_saveexec_b64 s[8:9], vcc
	s_xor_b64 s[8:9], exec, s[8:9]
	s_cbranch_execz .LBB15_194
; %bb.175:
	s_movk_i32 s0, 0x80
	v_cmp_eq_u16_e32 vcc, s0, v4
	s_mov_b64 s[0:1], -1
	s_and_saveexec_b64 s[10:11], vcc
; %bb.176:
	s_xor_b64 s[0:1], exec, -1
; %bb.177:
	s_or_b64 exec, exec, s[10:11]
	s_and_b64 s[0:1], s[0:1], exec
	s_or_saveexec_b64 s[8:9], s[8:9]
	v_mov_b32_e32 v3, 0x7f800001
	s_xor_b64 exec, exec, s[8:9]
	s_cbranch_execnz .LBB15_195
.LBB15_178:
	s_or_b64 exec, exec, s[8:9]
	s_and_saveexec_b64 s[8:9], s[0:1]
	s_cbranch_execz .LBB15_180
.LBB15_179:
	v_lshlrev_b32_e32 v3, 24, v4
	v_and_b32_e32 v4, 0xffff, v4
	v_and_b32_e32 v5, 7, v4
	v_ffbh_u32_e32 v7, v5
	v_min_u32_e32 v7, 32, v7
	v_subrev_u32_e32 v9, 28, v7
	v_bfe_u32 v6, v4, 3, 4
	v_lshlrev_b32_e32 v4, v9, v4
	v_sub_u32_e32 v7, 29, v7
	v_and_b32_e32 v4, 7, v4
	v_cmp_eq_u32_e32 vcc, 0, v6
	v_cndmask_b32_e32 v6, v6, v7, vcc
	v_cndmask_b32_e32 v4, v5, v4, vcc
	v_mov_b32_e32 v5, 0x3b800000
	v_lshlrev_b32_e32 v4, 20, v4
	v_and_b32_e32 v3, 0x80000000, v3
	v_lshl_add_u32 v5, v6, 23, v5
	v_or3_b32 v3, v3, v5, v4
.LBB15_180:
	s_or_b64 exec, exec, s[8:9]
.LBB15_181:
	s_mov_b64 s[0:1], -1
.LBB15_182:
	s_branch .LBB15_217
.LBB15_183:
	s_cmp_gt_i32 s12, 22
	s_cbranch_scc0 .LBB15_193
; %bb.184:
	s_cmp_lt_i32 s12, 24
	s_cbranch_scc1 .LBB15_196
; %bb.185:
	s_cmp_gt_i32 s12, 24
	s_cbranch_scc0 .LBB15_197
; %bb.186:
	global_load_ubyte v4, v[1:2], off
	s_movk_i32 s0, 0x7f
	s_waitcnt vmcnt(0)
	v_cmp_lt_i16_e32 vcc, s0, v4
	s_mov_b64 s[0:1], 0
	s_and_saveexec_b64 s[8:9], vcc
	s_xor_b64 s[8:9], exec, s[8:9]
	s_cbranch_execz .LBB15_209
; %bb.187:
	s_movk_i32 s0, 0x80
	v_cmp_eq_u16_e32 vcc, s0, v4
	s_mov_b64 s[0:1], -1
	s_and_saveexec_b64 s[10:11], vcc
; %bb.188:
	s_xor_b64 s[0:1], exec, -1
; %bb.189:
	s_or_b64 exec, exec, s[10:11]
	s_and_b64 s[0:1], s[0:1], exec
	s_or_saveexec_b64 s[8:9], s[8:9]
	v_mov_b32_e32 v3, 0x7f800001
	s_xor_b64 exec, exec, s[8:9]
	s_cbranch_execnz .LBB15_210
.LBB15_190:
	s_or_b64 exec, exec, s[8:9]
	s_and_saveexec_b64 s[8:9], s[0:1]
	s_cbranch_execz .LBB15_192
.LBB15_191:
	v_lshlrev_b32_e32 v3, 24, v4
	v_and_b32_e32 v4, 0xffff, v4
	v_and_b32_e32 v5, 3, v4
	v_ffbh_u32_e32 v7, v5
	v_min_u32_e32 v7, 32, v7
	v_subrev_u32_e32 v9, 29, v7
	v_bfe_u32 v6, v4, 2, 5
	v_lshlrev_b32_e32 v4, v9, v4
	v_sub_u32_e32 v7, 30, v7
	v_and_b32_e32 v4, 3, v4
	v_cmp_eq_u32_e32 vcc, 0, v6
	v_cndmask_b32_e32 v6, v6, v7, vcc
	v_cndmask_b32_e32 v4, v5, v4, vcc
	v_mov_b32_e32 v5, 0x37800000
	v_lshlrev_b32_e32 v4, 21, v4
	v_and_b32_e32 v3, 0x80000000, v3
	v_lshl_add_u32 v5, v6, 23, v5
	v_or3_b32 v3, v3, v5, v4
.LBB15_192:
	s_or_b64 exec, exec, s[8:9]
	s_mov_b64 s[0:1], 0
	s_branch .LBB15_198
.LBB15_193:
	s_mov_b64 s[8:9], -1
                                        ; implicit-def: $vgpr3
	s_branch .LBB15_204
.LBB15_194:
	s_or_saveexec_b64 s[8:9], s[8:9]
	v_mov_b32_e32 v3, 0x7f800001
	s_xor_b64 exec, exec, s[8:9]
	s_cbranch_execz .LBB15_178
.LBB15_195:
	v_cmp_ne_u16_e32 vcc, 0, v4
	s_andn2_b64 s[0:1], s[0:1], exec
	s_and_b64 s[10:11], vcc, exec
	v_mov_b32_e32 v3, 0
	s_or_b64 s[0:1], s[0:1], s[10:11]
	s_or_b64 exec, exec, s[8:9]
	s_and_saveexec_b64 s[8:9], s[0:1]
	s_cbranch_execnz .LBB15_179
	s_branch .LBB15_180
.LBB15_196:
	s_mov_b64 s[0:1], -1
                                        ; implicit-def: $vgpr3
	s_branch .LBB15_201
.LBB15_197:
	s_mov_b64 s[0:1], -1
                                        ; implicit-def: $vgpr3
.LBB15_198:
	s_and_b64 vcc, exec, s[0:1]
	s_cbranch_vccz .LBB15_200
; %bb.199:
	global_load_ubyte v3, v[1:2], off
	s_mov_b32 s0, 0x7f800000
	s_waitcnt vmcnt(0)
	v_lshlrev_b32_e32 v3, 24, v3
	v_and_b32_e32 v4, 0x7f000000, v3
	v_ffbh_u32_e32 v5, v4
	v_min_u32_e32 v5, 32, v5
	v_sub_u32_e64 v5, v5, 4 clamp
	v_lshlrev_b32_e32 v7, v5, v4
	v_lshlrev_b32_e32 v5, 23, v5
	v_lshrrev_b32_e32 v7, 4, v7
	v_add_u32_e32 v6, 0x1000000, v4
	v_sub_u32_e32 v5, v7, v5
	v_ashrrev_i32_e32 v6, 8, v6
	v_add_u32_e32 v5, 0x3c000000, v5
	v_and_or_b32 v5, v6, s0, v5
	v_cmp_ne_u32_e32 vcc, 0, v4
	v_cndmask_b32_e32 v4, 0, v5, vcc
	s_brev_b32 s0, 1
	v_and_or_b32 v3, v3, s0, v4
.LBB15_200:
	s_mov_b64 s[0:1], 0
.LBB15_201:
	s_andn2_b64 vcc, exec, s[0:1]
	s_cbranch_vccnz .LBB15_203
; %bb.202:
	global_load_ubyte v3, v[1:2], off
	s_movk_i32 s0, 0x7f00
	s_brev_b32 s1, 16
	s_waitcnt vmcnt(0)
	v_lshlrev_b16_e32 v4, 8, v3
	v_lshlrev_b32_e32 v3, 25, v3
	v_lshrrev_b32_e32 v5, 4, v3
	v_and_or_b32 v6, v4, s0, 0.5
	v_or_b32_e32 v5, 0x70000000, v5
	v_add_f32_e32 v6, -0.5, v6
	v_mul_f32_e32 v5, 0x7800000, v5
	v_cmp_gt_u32_e32 vcc, s1, v3
	v_bfe_i32 v4, v4, 0, 16
	v_cndmask_b32_e32 v3, v5, v6, vcc
	s_brev_b32 s0, 1
	v_and_or_b32 v3, v4, s0, v3
.LBB15_203:
	s_mov_b64 s[8:9], 0
	s_mov_b64 s[0:1], -1
.LBB15_204:
	s_andn2_b64 vcc, exec, s[8:9]
	s_cbranch_vccnz .LBB15_217
; %bb.205:
	s_cmp_gt_i32 s12, 14
	s_cbranch_scc0 .LBB15_208
; %bb.206:
	s_cmp_eq_u32 s12, 15
	s_cbranch_scc0 .LBB15_211
; %bb.207:
	global_load_ushort v3, v[1:2], off
	s_mov_b64 s[0:1], -1
	s_mov_b64 s[2:3], 0
	s_waitcnt vmcnt(0)
	v_lshlrev_b32_e32 v3, 16, v3
	s_branch .LBB15_212
.LBB15_208:
	s_mov_b64 s[8:9], -1
                                        ; implicit-def: $vgpr3
	s_branch .LBB15_213
.LBB15_209:
	s_or_saveexec_b64 s[8:9], s[8:9]
	v_mov_b32_e32 v3, 0x7f800001
	s_xor_b64 exec, exec, s[8:9]
	s_cbranch_execz .LBB15_190
.LBB15_210:
	v_cmp_ne_u16_e32 vcc, 0, v4
	s_andn2_b64 s[0:1], s[0:1], exec
	s_and_b64 s[10:11], vcc, exec
	v_mov_b32_e32 v3, 0
	s_or_b64 s[0:1], s[0:1], s[10:11]
	s_or_b64 exec, exec, s[8:9]
	s_and_saveexec_b64 s[8:9], s[0:1]
	s_cbranch_execnz .LBB15_191
	s_branch .LBB15_192
.LBB15_211:
	s_mov_b64 s[2:3], -1
                                        ; implicit-def: $vgpr3
.LBB15_212:
	s_mov_b64 s[8:9], 0
.LBB15_213:
	s_and_b64 vcc, exec, s[8:9]
	s_cbranch_vccz .LBB15_217
; %bb.214:
	s_cmp_eq_u32 s12, 11
	s_cbranch_scc0 .LBB15_216
; %bb.215:
	global_load_ubyte v3, v[1:2], off
	s_mov_b64 s[0:1], -1
	s_mov_b64 s[2:3], 0
	s_waitcnt vmcnt(0)
	v_cmp_ne_u16_e32 vcc, 0, v3
	v_cndmask_b32_e64 v3, 0, 1.0, vcc
	s_branch .LBB15_217
.LBB15_216:
	s_mov_b64 s[2:3], -1
                                        ; implicit-def: $vgpr3
.LBB15_217:
	s_branch .LBB15_24
.LBB15_218:
	s_cmp_lt_i32 s12, 5
	s_cbranch_scc1 .LBB15_223
; %bb.219:
	s_cmp_lt_i32 s12, 8
	s_cbranch_scc1 .LBB15_224
; %bb.220:
	s_cmp_lt_i32 s12, 9
	s_cbranch_scc1 .LBB15_225
; %bb.221:
	s_cmp_gt_i32 s12, 9
	s_cbranch_scc0 .LBB15_226
; %bb.222:
	global_load_dwordx2 v[3:4], v[1:2], off
	s_mov_b64 s[0:1], 0
	s_waitcnt vmcnt(0)
	v_cvt_f32_f64_e32 v3, v[3:4]
	s_branch .LBB15_227
.LBB15_223:
                                        ; implicit-def: $vgpr3
	s_branch .LBB15_245
.LBB15_224:
	s_mov_b64 s[0:1], -1
                                        ; implicit-def: $vgpr3
	s_branch .LBB15_233
.LBB15_225:
	s_mov_b64 s[0:1], -1
                                        ; implicit-def: $vgpr3
	s_branch .LBB15_230
.LBB15_226:
	s_mov_b64 s[0:1], -1
                                        ; implicit-def: $vgpr3
.LBB15_227:
	s_andn2_b64 vcc, exec, s[0:1]
	s_cbranch_vccnz .LBB15_229
; %bb.228:
	global_load_dword v3, v[1:2], off
.LBB15_229:
	s_mov_b64 s[0:1], 0
.LBB15_230:
	s_andn2_b64 vcc, exec, s[0:1]
	s_cbranch_vccnz .LBB15_232
; %bb.231:
	global_load_dword v3, v[1:2], off
	s_waitcnt vmcnt(0)
	v_cvt_f32_f16_e32 v3, v3
.LBB15_232:
	s_mov_b64 s[0:1], 0
.LBB15_233:
	s_andn2_b64 vcc, exec, s[0:1]
	s_cbranch_vccnz .LBB15_244
; %bb.234:
	s_cmp_lt_i32 s12, 6
	s_cbranch_scc1 .LBB15_237
; %bb.235:
	s_cmp_gt_i32 s12, 6
	s_cbranch_scc0 .LBB15_238
; %bb.236:
	global_load_dwordx2 v[3:4], v[1:2], off
	s_mov_b64 s[0:1], 0
	s_waitcnt vmcnt(0)
	v_cvt_f32_f64_e32 v3, v[3:4]
	s_branch .LBB15_239
.LBB15_237:
	s_mov_b64 s[0:1], -1
                                        ; implicit-def: $vgpr3
	s_branch .LBB15_242
.LBB15_238:
	s_mov_b64 s[0:1], -1
                                        ; implicit-def: $vgpr3
.LBB15_239:
	s_andn2_b64 vcc, exec, s[0:1]
	s_cbranch_vccnz .LBB15_241
; %bb.240:
	global_load_dword v3, v[1:2], off
.LBB15_241:
	s_mov_b64 s[0:1], 0
.LBB15_242:
	s_andn2_b64 vcc, exec, s[0:1]
	s_cbranch_vccnz .LBB15_244
; %bb.243:
	global_load_ushort v3, v[1:2], off
	s_waitcnt vmcnt(0)
	v_cvt_f32_f16_e32 v3, v3
.LBB15_244:
	s_cbranch_execnz .LBB15_264
.LBB15_245:
	s_cmp_lt_i32 s12, 2
	s_cbranch_scc1 .LBB15_249
; %bb.246:
	s_cmp_lt_i32 s12, 3
	s_cbranch_scc1 .LBB15_250
; %bb.247:
	s_cmp_gt_i32 s12, 3
	s_cbranch_scc0 .LBB15_251
; %bb.248:
	global_load_dwordx2 v[3:4], v[1:2], off
	s_mov_b64 s[0:1], 0
	s_waitcnt vmcnt(0)
	v_xor_b32_e32 v6, v3, v4
	v_ffbh_i32_e32 v5, v4
	v_ashrrev_i32_e32 v6, 31, v6
	v_add_u32_e32 v5, -1, v5
	v_add_u32_e32 v6, 32, v6
	v_min_u32_e32 v5, v5, v6
	v_lshlrev_b64 v[3:4], v5, v[3:4]
	v_min_u32_e32 v3, 1, v3
	v_or_b32_e32 v3, v4, v3
	v_cvt_f32_i32_e32 v3, v3
	v_sub_u32_e32 v4, 32, v5
	v_ldexp_f32 v3, v3, v4
	s_branch .LBB15_252
.LBB15_249:
	s_mov_b64 s[0:1], -1
                                        ; implicit-def: $vgpr3
	s_branch .LBB15_258
.LBB15_250:
	s_mov_b64 s[0:1], -1
                                        ; implicit-def: $vgpr3
	s_branch .LBB15_255
.LBB15_251:
	s_mov_b64 s[0:1], -1
                                        ; implicit-def: $vgpr3
.LBB15_252:
	s_andn2_b64 vcc, exec, s[0:1]
	s_cbranch_vccnz .LBB15_254
; %bb.253:
	global_load_dword v3, v[1:2], off
	s_waitcnt vmcnt(0)
	v_cvt_f32_i32_e32 v3, v3
.LBB15_254:
	s_mov_b64 s[0:1], 0
.LBB15_255:
	s_andn2_b64 vcc, exec, s[0:1]
	s_cbranch_vccnz .LBB15_257
; %bb.256:
	global_load_sshort v3, v[1:2], off
	s_waitcnt vmcnt(0)
	v_cvt_f32_i32_e32 v3, v3
.LBB15_257:
	s_mov_b64 s[0:1], 0
.LBB15_258:
	s_andn2_b64 vcc, exec, s[0:1]
	s_cbranch_vccnz .LBB15_264
; %bb.259:
	s_cmp_gt_i32 s12, 0
	s_cbranch_scc0 .LBB15_261
; %bb.260:
	global_load_sbyte v3, v[1:2], off
	s_mov_b64 s[0:1], 0
	s_waitcnt vmcnt(0)
	v_cvt_f32_i32_e32 v3, v3
	s_branch .LBB15_262
.LBB15_261:
	s_mov_b64 s[0:1], -1
                                        ; implicit-def: $vgpr3
.LBB15_262:
	s_andn2_b64 vcc, exec, s[0:1]
	s_cbranch_vccnz .LBB15_264
; %bb.263:
	global_load_ubyte v1, v[1:2], off
	s_waitcnt vmcnt(0)
	v_cvt_f32_ubyte0_e32 v3, v1
.LBB15_264:
	s_branch .LBB15_25
.LBB15_265:
	s_mov_b64 s[0:1], 0
.LBB15_266:
	s_mov_b64 s[8:9], 0
                                        ; implicit-def: $vgpr8
.LBB15_267:
	s_and_b64 s[54:55], s[0:1], exec
	s_and_b64 s[56:57], s[2:3], exec
	s_orn2_b64 s[2:3], s[8:9], exec
.LBB15_268:
	s_or_b64 exec, exec, s[58:59]
	s_mov_b64 s[10:11], 0
	s_mov_b64 s[0:1], 0
                                        ; implicit-def: $vgpr1_vgpr2
                                        ; implicit-def: $vgpr0
                                        ; implicit-def: $vgpr5
	s_and_saveexec_b64 s[58:59], s[2:3]
	s_cbranch_execz .LBB15_275
; %bb.269:
	v_cmp_gt_i32_e32 vcc, s72, v8
	s_mov_b64 s[0:1], -1
	s_mov_b64 s[60:61], s[56:57]
	s_mov_b64 s[62:63], s[54:55]
	s_and_saveexec_b64 s[64:65], vcc
	s_cbranch_execz .LBB15_546
; %bb.270:
	s_andn2_b64 vcc, exec, s[40:41]
	s_cbranch_vccnz .LBB15_278
; %bb.271:
	s_andn2_b64 vcc, exec, s[52:53]
	s_cbranch_vccnz .LBB15_279
; %bb.272:
	s_add_i32 s67, s76, 1
	s_cmp_eq_u32 s74, 2
	s_cbranch_scc1 .LBB15_280
; %bb.273:
	s_and_b32 s66, s67, 28
	v_mov_b32_e32 v2, 0
	s_mov_b32 s68, 0
	s_mov_b64 s[60:61], s[34:35]
	s_mov_b64 s[62:63], s[50:51]
	v_mov_b32_e32 v0, 0
	v_mov_b32_e32 v1, v8
.LBB15_274:                             ; =>This Inner Loop Header: Depth=1
	s_load_dwordx8 s[16:23], s[60:61], 0x4
	s_load_dwordx4 s[0:3], s[60:61], 0x24
	s_load_dwordx8 s[8:15], s[62:63], 0x0
	s_add_u32 s60, s60, 48
	s_addc_u32 s61, s61, 0
	s_waitcnt vmcnt(0) lgkmcnt(0)
	v_mul_hi_u32 v3, s17, v1
	s_add_i32 s68, s68, 4
	s_add_u32 s62, s62, 32
	s_addc_u32 s63, s63, 0
	v_add_u32_e32 v3, v1, v3
	v_lshrrev_b32_e32 v3, s18, v3
	v_mul_lo_u32 v4, v3, s16
	v_mul_hi_u32 v5, s20, v3
	s_cmp_eq_u32 s66, s68
	v_sub_u32_e32 v1, v1, v4
	v_add_u32_e32 v4, v3, v5
	v_mul_lo_u32 v5, v1, s8
	v_mul_lo_u32 v6, v1, s9
	v_lshrrev_b32_e32 v1, s21, v4
	v_mul_lo_u32 v4, v1, s19
	v_mul_hi_u32 v7, s23, v1
	v_sub_u32_e32 v3, v3, v4
	v_add_u32_e32 v4, v1, v7
	v_lshrrev_b32_e32 v4, s0, v4
	v_mul_hi_u32 v9, s2, v4
	v_mul_lo_u32 v10, v4, s22
	v_mul_lo_u32 v7, v3, s10
	;; [unrolled: 1-line block ×3, first 2 shown]
	v_sub_u32_e32 v10, v1, v10
	v_add_u32_e32 v1, v4, v9
	v_lshrrev_b32_e32 v1, s3, v1
	v_mul_lo_u32 v9, v1, s1
	v_mul_lo_u32 v11, v10, s12
	;; [unrolled: 1-line block ×3, first 2 shown]
	v_add3_u32 v0, v5, v0, v7
	v_sub_u32_e32 v4, v4, v9
	v_mul_lo_u32 v9, v4, s14
	v_mul_lo_u32 v4, v4, s15
	v_add3_u32 v2, v6, v2, v3
	v_add3_u32 v0, v11, v0, v9
	;; [unrolled: 1-line block ×3, first 2 shown]
	s_cbranch_scc0 .LBB15_274
	s_branch .LBB15_281
.LBB15_275:
	s_or_b64 exec, exec, s[58:59]
	s_mov_b64 s[2:3], 0
	s_and_saveexec_b64 s[8:9], s[56:57]
	s_cbranch_execnz .LBB15_924
.LBB15_276:
	s_or_b64 exec, exec, s[8:9]
	s_and_saveexec_b64 s[8:9], s[62:63]
	s_xor_b64 s[8:9], exec, s[8:9]
	s_cbranch_execz .LBB15_925
.LBB15_277:
	global_load_ubyte v3, v[1:2], off
	s_or_b64 s[0:1], s[0:1], exec
	s_waitcnt vmcnt(0)
	v_cmp_ne_u16_e32 vcc, 0, v3
	v_cndmask_b32_e64 v5, 0, 1.0, vcc
	s_or_b64 exec, exec, s[8:9]
	s_and_saveexec_b64 s[8:9], s[10:11]
	s_cbranch_execz .LBB15_971
	s_branch .LBB15_926
.LBB15_278:
                                        ; implicit-def: $vgpr0
                                        ; implicit-def: $vgpr2
	s_andn2_b64 vcc, exec, s[0:1]
	s_cbranch_vccz .LBB15_285
	s_branch .LBB15_287
.LBB15_279:
	v_mov_b32_e32 v0, 0
	v_mov_b32_e32 v2, 0
	s_branch .LBB15_284
.LBB15_280:
	s_mov_b32 s66, 0
	v_mov_b32_e32 v0, 0
	v_mov_b32_e32 v2, 0
	;; [unrolled: 1-line block ×3, first 2 shown]
.LBB15_281:
	s_and_b32 s8, s67, 3
	s_cmp_eq_u32 s8, 0
	s_cbranch_scc1 .LBB15_284
; %bb.282:
	s_lshl_b32 s0, s66, 3
	s_add_u32 s0, s34, s0
	s_addc_u32 s1, s35, 0
	s_add_u32 s0, s0, 0xc4
	s_addc_u32 s1, s1, 0
	s_mul_i32 s2, s66, 12
	s_add_u32 s2, s34, s2
	s_addc_u32 s3, s35, 0
.LBB15_283:                             ; =>This Inner Loop Header: Depth=1
	s_load_dwordx2 s[10:11], s[2:3], 0x4
	s_load_dword s9, s[2:3], 0xc
	s_load_dwordx2 s[12:13], s[0:1], 0x0
	s_add_u32 s2, s2, 12
	s_addc_u32 s3, s3, 0
	s_waitcnt vmcnt(0) lgkmcnt(0)
	v_mul_hi_u32 v3, s11, v1
	s_add_u32 s0, s0, 8
	s_addc_u32 s1, s1, 0
	s_add_i32 s8, s8, -1
	v_add_u32_e32 v3, v1, v3
	v_lshrrev_b32_e32 v4, s9, v3
	v_mul_lo_u32 v3, v4, s10
	s_cmp_lg_u32 s8, 0
	v_sub_u32_e32 v3, v1, v3
	v_mad_u64_u32 v[0:1], s[10:11], v3, s12, v[0:1]
	v_mad_u64_u32 v[2:3], s[10:11], v3, s13, v[2:3]
	v_mov_b32_e32 v1, v4
	s_cbranch_scc1 .LBB15_283
.LBB15_284:
	s_cbranch_execnz .LBB15_287
.LBB15_285:
	v_mul_hi_u32 v0, s29, v8
	s_andn2_b64 vcc, exec, s[48:49]
	v_add_u32_e32 v0, v8, v0
	v_lshrrev_b32_e32 v1, s30, v0
	v_mul_lo_u32 v0, v1, s28
	v_sub_u32_e32 v2, v8, v0
	v_mul_lo_u32 v0, v2, s36
	v_mul_lo_u32 v2, v2, s37
	s_cbranch_vccnz .LBB15_287
; %bb.286:
	s_waitcnt vmcnt(0)
	v_mul_hi_u32 v3, s46, v1
	v_add_u32_e32 v3, v1, v3
	v_lshrrev_b32_e32 v3, s47, v3
	v_mul_lo_u32 v3, v3, s31
	v_sub_u32_e32 v3, v1, v3
	v_mad_u64_u32 v[0:1], s[0:1], v3, s38, v[0:1]
	v_mad_u64_u32 v[2:3], s[0:1], v3, s39, v[2:3]
.LBB15_287:
	s_waitcnt vmcnt(0)
	v_mov_b32_e32 v3, s27
	s_and_b32 s12, 0xffff, s75
	v_add_co_u32_e32 v1, vcc, s26, v2
	s_cmp_lt_i32 s12, 11
	v_addc_co_u32_e32 v2, vcc, 0, v3, vcc
	s_cbranch_scc1 .LBB15_294
; %bb.288:
	s_cmp_gt_i32 s12, 25
	s_cbranch_scc0 .LBB15_305
; %bb.289:
	s_cmp_gt_i32 s12, 28
	s_cbranch_scc0 .LBB15_307
	;; [unrolled: 3-line block ×4, first 2 shown]
; %bb.292:
	s_cmp_eq_u32 s12, 46
	s_mov_b64 s[8:9], 0
	s_cbranch_scc0 .LBB15_317
; %bb.293:
	global_load_dword v3, v[1:2], off
	s_mov_b64 s[0:1], -1
	s_mov_b64 s[2:3], 0
	s_waitcnt vmcnt(0)
	v_lshlrev_b32_e32 v3, 16, v3
	s_branch .LBB15_318
.LBB15_294:
	s_mov_b64 s[0:1], 0
                                        ; implicit-def: $vgpr3
	s_mov_b64 s[2:3], s[56:57]
	s_cbranch_execnz .LBB15_495
.LBB15_295:
	s_andn2_b64 vcc, exec, s[0:1]
	s_cbranch_vccnz .LBB15_543
.LBB15_296:
	s_waitcnt vmcnt(0)
	v_cmp_lt_f32_e32 vcc, s44, v3
	v_mov_b32_e32 v1, 1.0
	s_and_saveexec_b64 s[0:1], vcc
	s_cbranch_execz .LBB15_298
; %bb.297:
	v_add_f32_e32 v1, 0x33d6bf95, v3
	v_div_scale_f32 v2, s[8:9], v1, v1, s44
	v_div_scale_f32 v3, vcc, s44, v1, s44
	v_rcp_f32_e32 v4, v2
	v_fma_f32 v5, -v2, v4, 1.0
	v_fmac_f32_e32 v4, v5, v4
	v_mul_f32_e32 v5, v3, v4
	v_fma_f32 v6, -v2, v5, v3
	v_fmac_f32_e32 v5, v6, v4
	v_fma_f32 v2, -v2, v5, v3
	v_div_fmas_f32 v2, v2, v4, v5
	v_div_fixup_f32 v1, v2, v1, s44
.LBB15_298:
	s_or_b64 exec, exec, s[0:1]
	v_mov_b32_e32 v2, s25
	s_and_b32 s14, s45, 0xff
	v_add_co_u32_e32 v3, vcc, s24, v0
	s_cmp_lt_i32 s14, 11
	v_addc_co_u32_e32 v4, vcc, 0, v2, vcc
	s_cbranch_scc1 .LBB15_306
; %bb.299:
	s_and_b32 s15, 0xffff, s14
	s_cmp_gt_i32 s15, 25
	s_cbranch_scc0 .LBB15_308
; %bb.300:
	s_cmp_gt_i32 s15, 28
	s_cbranch_scc0 .LBB15_310
; %bb.301:
	;; [unrolled: 3-line block ×4, first 2 shown]
	s_mov_b64 s[10:11], 0
	s_mov_b64 s[0:1], -1
	s_cmp_eq_u32 s15, 46
	s_mov_b64 s[8:9], 0
	s_cbranch_scc0 .LBB15_322
; %bb.304:
	v_bfe_u32 v0, v1, 16, 1
	s_movk_i32 s0, 0x7fff
	v_add3_u32 v0, v1, v0, s0
	v_cmp_o_f32_e32 vcc, v1, v1
	v_mov_b32_e32 v2, 0x7fc0
	v_cndmask_b32_sdwa v0, v2, v0, vcc dst_sel:DWORD dst_unused:UNUSED_PAD src0_sel:DWORD src1_sel:WORD_1
	global_store_dword v[3:4], v0, off
	s_mov_b64 s[8:9], -1
	s_mov_b64 s[0:1], 0
	s_branch .LBB15_322
.LBB15_305:
	s_mov_b64 s[8:9], -1
	s_mov_b64 s[0:1], 0
	s_mov_b64 s[2:3], s[56:57]
                                        ; implicit-def: $vgpr3
	s_branch .LBB15_459
.LBB15_306:
	s_mov_b64 s[10:11], -1
	s_mov_b64 s[8:9], 0
	s_mov_b64 s[0:1], s[54:55]
	s_branch .LBB15_391
.LBB15_307:
	s_mov_b64 s[8:9], -1
	s_mov_b64 s[0:1], 0
	s_mov_b64 s[2:3], s[56:57]
                                        ; implicit-def: $vgpr3
	s_branch .LBB15_440
.LBB15_308:
	s_mov_b64 s[10:11], -1
	s_mov_b64 s[8:9], 0
	s_mov_b64 s[0:1], s[54:55]
	s_branch .LBB15_349
.LBB15_309:
	s_mov_b64 s[8:9], -1
	s_mov_b64 s[0:1], 0
	s_mov_b64 s[2:3], s[56:57]
                                        ; implicit-def: $vgpr3
	s_branch .LBB15_435
.LBB15_310:
	s_mov_b64 s[10:11], -1
	s_mov_b64 s[8:9], 0
	s_mov_b64 s[0:1], s[54:55]
	s_branch .LBB15_332
.LBB15_311:
	s_andn2_saveexec_b64 s[12:13], s[12:13]
	s_cbranch_execz .LBB15_70
.LBB15_312:
	s_mov_b32 s16, 0x46000000
	v_add_f32_e64 v0, |v1|, s16
	v_and_b32_e32 v0, 0xff, v0
	v_cmp_ne_u32_e32 vcc, 0, v0
	s_andn2_b64 s[10:11], s[10:11], exec
	s_and_b64 s[16:17], vcc, exec
	s_or_b64 s[10:11], s[10:11], s[16:17]
	s_or_b64 exec, exec, s[12:13]
	v_mov_b32_e32 v2, 0
	s_and_saveexec_b64 s[12:13], s[10:11]
	s_cbranch_execnz .LBB15_71
	s_branch .LBB15_72
.LBB15_313:
	s_mov_b64 s[8:9], -1
	s_mov_b64 s[0:1], 0
	s_mov_b64 s[2:3], s[56:57]
                                        ; implicit-def: $vgpr3
	s_branch .LBB15_318
.LBB15_314:
	s_mov_b64 s[10:11], -1
	s_mov_b64 s[8:9], 0
	s_mov_b64 s[0:1], s[54:55]
	s_branch .LBB15_328
.LBB15_315:
	s_andn2_saveexec_b64 s[12:13], s[12:13]
	s_cbranch_execz .LBB15_83
.LBB15_316:
	s_mov_b32 s16, 0x42800000
	v_add_f32_e64 v0, |v1|, s16
	v_and_b32_e32 v0, 0xff, v0
	v_cmp_ne_u32_e32 vcc, 0, v0
	s_andn2_b64 s[10:11], s[10:11], exec
	s_and_b64 s[16:17], vcc, exec
	s_or_b64 s[10:11], s[10:11], s[16:17]
	s_or_b64 exec, exec, s[12:13]
	v_mov_b32_e32 v2, 0
	s_and_saveexec_b64 s[12:13], s[10:11]
	s_cbranch_execnz .LBB15_84
	s_branch .LBB15_85
.LBB15_317:
	s_mov_b64 s[2:3], -1
                                        ; implicit-def: $vgpr3
	s_mov_b64 s[0:1], 0
.LBB15_318:
	s_and_b64 vcc, exec, s[8:9]
	s_cbranch_vccz .LBB15_434
; %bb.319:
	s_cmp_eq_u32 s12, 44
	s_cbranch_scc0 .LBB15_433
; %bb.320:
	global_load_ubyte v3, v[1:2], off
	s_movk_i32 s2, 0xff
	v_mov_b32_e32 v4, 0x7f800001
	v_mov_b32_e32 v5, 0x400000
	s_mov_b64 s[0:1], -1
	s_waitcnt vmcnt(0)
	v_lshlrev_b32_e32 v6, 23, v3
	v_cmp_ne_u32_e32 vcc, s2, v3
	v_cndmask_b32_e32 v4, v4, v6, vcc
	v_cmp_ne_u32_e32 vcc, 0, v3
	v_cndmask_b32_e32 v3, v5, v4, vcc
	s_mov_b64 s[2:3], 0
	s_branch .LBB15_434
.LBB15_321:
	s_mov_b64 s[10:11], -1
	s_mov_b64 s[8:9], 0
	s_mov_b64 s[0:1], s[54:55]
.LBB15_322:
	s_and_b64 vcc, exec, s[10:11]
	s_cbranch_vccz .LBB15_327
; %bb.323:
	s_cmp_eq_u32 s15, 44
	s_mov_b64 s[0:1], -1
	s_cbranch_scc0 .LBB15_327
; %bb.324:
	v_bfe_u32 v0, v1, 23, 8
	s_movk_i32 s0, 0xff
	v_cmp_ne_u32_e32 vcc, s0, v0
	v_mov_b32_e32 v2, 0xff
	s_and_saveexec_b64 s[8:9], vcc
; %bb.325:
	s_mov_b32 s0, 0x3fffff
	v_and_b32_e32 v5, 0x400000, v1
	v_and_or_b32 v0, v1, s0, v0
	v_cmp_ne_u32_e32 vcc, 0, v5
	v_cmp_ne_u32_e64 s[0:1], 0, v0
	s_and_b64 s[0:1], vcc, s[0:1]
	v_lshrrev_b32_e32 v2, 23, v1
	v_cndmask_b32_e64 v0, 0, 1, s[0:1]
	v_add_u32_e32 v2, v2, v0
; %bb.326:
	s_or_b64 exec, exec, s[8:9]
	s_mov_b64 s[8:9], -1
	s_mov_b64 s[0:1], 0
	global_store_byte v[3:4], v2, off
.LBB15_327:
	s_mov_b64 s[10:11], 0
.LBB15_328:
	s_and_b64 vcc, exec, s[10:11]
	s_cbranch_vccz .LBB15_331
; %bb.329:
	s_cmp_eq_u32 s15, 29
	s_mov_b64 s[0:1], -1
	s_cbranch_scc0 .LBB15_331
; %bb.330:
	v_trunc_f32_e32 v0, v1
	v_mul_f32_e32 v2, 0x2f800000, v0
	v_floor_f32_e32 v2, v2
	v_fmac_f32_e32 v0, 0xcf800000, v2
	v_cvt_u32_f32_e32 v6, v2
	v_cvt_u32_f32_e32 v5, v0
	s_mov_b64 s[8:9], -1
	s_mov_b64 s[0:1], 0
	s_mov_b64 s[10:11], 0
	global_store_dwordx2 v[3:4], v[5:6], off
	s_branch .LBB15_332
.LBB15_331:
	s_mov_b64 s[10:11], 0
.LBB15_332:
	s_and_b64 vcc, exec, s[10:11]
	s_cbranch_vccz .LBB15_348
; %bb.333:
	s_cmp_lt_i32 s15, 27
	s_mov_b64 s[8:9], -1
	s_cbranch_scc1 .LBB15_339
; %bb.334:
	v_cvt_u32_f32_e32 v0, v1
	s_cmp_gt_i32 s15, 27
	s_cbranch_scc0 .LBB15_336
; %bb.335:
	s_mov_b64 s[8:9], 0
	global_store_dword v[3:4], v0, off
.LBB15_336:
	s_andn2_b64 vcc, exec, s[8:9]
	s_cbranch_vccnz .LBB15_338
; %bb.337:
	global_store_short v[3:4], v0, off
.LBB15_338:
	s_mov_b64 s[8:9], 0
.LBB15_339:
	s_andn2_b64 vcc, exec, s[8:9]
	s_cbranch_vccnz .LBB15_347
; %bb.340:
	v_and_b32_e32 v0, 0x7fffffff, v1
	s_mov_b32 s8, 0x43800000
	v_cmp_gt_u32_e32 vcc, s8, v0
	v_mov_b32_e32 v2, 0x80
	s_and_saveexec_b64 s[8:9], vcc
	s_cbranch_execz .LBB15_346
; %bb.341:
	s_mov_b32 s10, 0x3bffffff
	v_cmp_lt_u32_e32 vcc, s10, v0
	s_mov_b64 s[10:11], 0
                                        ; implicit-def: $vgpr0
	s_and_saveexec_b64 s[12:13], vcc
	s_xor_b64 s[12:13], exec, s[12:13]
	s_cbranch_execz .LBB15_574
; %bb.342:
	v_bfe_u32 v0, v1, 20, 1
	s_mov_b32 s16, 0x487ffff
	v_add3_u32 v0, v1, v0, s16
	s_mov_b64 s[10:11], exec
	v_lshrrev_b32_e32 v0, 20, v0
	s_andn2_saveexec_b64 s[12:13], s[12:13]
	s_cbranch_execnz .LBB15_575
.LBB15_343:
	s_or_b64 exec, exec, s[12:13]
	v_mov_b32_e32 v2, 0
	s_and_saveexec_b64 s[12:13], s[10:11]
.LBB15_344:
	v_lshrrev_b32_e32 v2, 24, v1
	s_movk_i32 s10, 0x80
	v_and_or_b32 v2, v2, s10, v0
.LBB15_345:
	s_or_b64 exec, exec, s[12:13]
.LBB15_346:
	s_or_b64 exec, exec, s[8:9]
	global_store_byte v[3:4], v2, off
.LBB15_347:
	s_mov_b64 s[8:9], -1
.LBB15_348:
	s_mov_b64 s[10:11], 0
.LBB15_349:
	s_and_b64 vcc, exec, s[10:11]
	s_cbranch_vccz .LBB15_390
; %bb.350:
	s_cmp_gt_i32 s15, 22
	s_mov_b64 s[10:11], -1
	s_cbranch_scc0 .LBB15_382
; %bb.351:
	s_cmp_lt_i32 s15, 24
	s_mov_b64 s[8:9], -1
	s_cbranch_scc1 .LBB15_371
; %bb.352:
	s_cmp_gt_i32 s15, 24
	s_cbranch_scc0 .LBB15_360
; %bb.353:
	v_and_b32_e32 v0, 0x7fffffff, v1
	s_mov_b32 s8, 0x47800000
	v_cmp_gt_u32_e32 vcc, s8, v0
	v_mov_b32_e32 v2, 0x80
	s_and_saveexec_b64 s[8:9], vcc
	s_cbranch_execz .LBB15_359
; %bb.354:
	s_mov_b32 s10, 0x37ffffff
	v_cmp_lt_u32_e32 vcc, s10, v0
	s_mov_b64 s[10:11], 0
                                        ; implicit-def: $vgpr0
	s_and_saveexec_b64 s[12:13], vcc
	s_xor_b64 s[12:13], exec, s[12:13]
	s_cbranch_execz .LBB15_577
; %bb.355:
	v_bfe_u32 v0, v1, 21, 1
	s_mov_b32 s16, 0x88fffff
	v_add3_u32 v0, v1, v0, s16
	s_mov_b64 s[10:11], exec
	v_lshrrev_b32_e32 v0, 21, v0
	s_andn2_saveexec_b64 s[12:13], s[12:13]
	s_cbranch_execnz .LBB15_578
.LBB15_356:
	s_or_b64 exec, exec, s[12:13]
	v_mov_b32_e32 v2, 0
	s_and_saveexec_b64 s[12:13], s[10:11]
.LBB15_357:
	v_lshrrev_b32_e32 v2, 24, v1
	s_movk_i32 s10, 0x80
	v_and_or_b32 v2, v2, s10, v0
.LBB15_358:
	s_or_b64 exec, exec, s[12:13]
.LBB15_359:
	s_or_b64 exec, exec, s[8:9]
	s_mov_b64 s[8:9], 0
	global_store_byte v[3:4], v2, off
.LBB15_360:
	s_and_b64 vcc, exec, s[8:9]
	s_cbranch_vccz .LBB15_370
; %bb.361:
	v_and_b32_e32 v2, 0x7fffffff, v1
	s_mov_b32 s8, 0x43f00000
	v_cmp_gt_u32_e32 vcc, s8, v2
                                        ; implicit-def: $vgpr0
	s_and_saveexec_b64 s[8:9], vcc
	s_xor_b64 s[8:9], exec, s[8:9]
	s_cbranch_execz .LBB15_367
; %bb.362:
	s_mov_b32 s10, 0x3c7fffff
	v_cmp_lt_u32_e32 vcc, s10, v2
                                        ; implicit-def: $vgpr0
	s_and_saveexec_b64 s[10:11], vcc
	s_xor_b64 s[10:11], exec, s[10:11]
; %bb.363:
	v_bfe_u32 v0, v1, 20, 1
	s_mov_b32 s12, 0x407ffff
	v_add3_u32 v0, v1, v0, s12
	v_lshrrev_b32_e32 v2, 20, v0
	v_and_b32_e32 v0, 0xff00000, v0
	s_mov_b32 s12, 0x7f00000
	v_mov_b32_e32 v5, 0x7e
	v_cmp_ne_u32_e32 vcc, s12, v0
	v_cndmask_b32_e32 v0, v5, v2, vcc
; %bb.364:
	s_andn2_saveexec_b64 s[10:11], s[10:11]
; %bb.365:
	s_mov_b32 s12, 0x46800000
	v_add_f32_e64 v0, |v1|, s12
; %bb.366:
	s_or_b64 exec, exec, s[10:11]
                                        ; implicit-def: $vgpr2
.LBB15_367:
	s_andn2_saveexec_b64 s[8:9], s[8:9]
; %bb.368:
	s_mov_b32 s10, 0x7f800000
	v_mov_b32_e32 v0, 0x7e
	v_mov_b32_e32 v5, 0x7f
	v_cmp_lt_u32_e32 vcc, s10, v2
	v_cndmask_b32_e32 v0, v0, v5, vcc
; %bb.369:
	s_or_b64 exec, exec, s[8:9]
	v_lshrrev_b32_e32 v2, 24, v1
	s_movk_i32 s8, 0x80
	v_and_or_b32 v0, v2, s8, v0
	global_store_byte v[3:4], v0, off
.LBB15_370:
	s_mov_b64 s[8:9], 0
.LBB15_371:
	s_andn2_b64 vcc, exec, s[8:9]
	s_cbranch_vccnz .LBB15_381
; %bb.372:
	v_and_b32_e32 v2, 0x7fffffff, v1
	s_mov_b32 s8, 0x47800000
	v_cmp_gt_u32_e32 vcc, s8, v2
                                        ; implicit-def: $vgpr0
	s_and_saveexec_b64 s[8:9], vcc
	s_xor_b64 s[8:9], exec, s[8:9]
	s_cbranch_execz .LBB15_378
; %bb.373:
	s_mov_b32 s10, 0x387fffff
	v_cmp_lt_u32_e32 vcc, s10, v2
                                        ; implicit-def: $vgpr0
	s_and_saveexec_b64 s[10:11], vcc
	s_xor_b64 s[10:11], exec, s[10:11]
; %bb.374:
	v_bfe_u32 v0, v1, 21, 1
	s_mov_b32 s12, 0x80fffff
	v_add3_u32 v0, v1, v0, s12
	v_lshrrev_b32_e32 v0, 21, v0
; %bb.375:
	s_andn2_saveexec_b64 s[10:11], s[10:11]
; %bb.376:
	s_mov_b32 s12, 0x43000000
	v_add_f32_e64 v0, |v1|, s12
; %bb.377:
	s_or_b64 exec, exec, s[10:11]
                                        ; implicit-def: $vgpr2
.LBB15_378:
	s_andn2_saveexec_b64 s[8:9], s[8:9]
; %bb.379:
	s_mov_b32 s10, 0x7f800000
	v_mov_b32_e32 v0, 0x7c
	v_mov_b32_e32 v5, 0x7f
	v_cmp_lt_u32_e32 vcc, s10, v2
	v_cndmask_b32_e32 v0, v0, v5, vcc
; %bb.380:
	s_or_b64 exec, exec, s[8:9]
	v_lshrrev_b32_e32 v2, 24, v1
	s_movk_i32 s8, 0x80
	v_and_or_b32 v0, v2, s8, v0
	global_store_byte v[3:4], v0, off
.LBB15_381:
	s_mov_b64 s[10:11], 0
	s_mov_b64 s[8:9], -1
.LBB15_382:
	s_andn2_b64 vcc, exec, s[10:11]
	s_cbranch_vccnz .LBB15_390
; %bb.383:
	s_cmp_gt_i32 s15, 14
	s_mov_b64 s[10:11], -1
	s_cbranch_scc0 .LBB15_387
; %bb.384:
	s_cmp_eq_u32 s15, 15
	s_mov_b64 s[0:1], -1
	s_cbranch_scc0 .LBB15_386
; %bb.385:
	v_bfe_u32 v0, v1, 16, 1
	s_movk_i32 s0, 0x7fff
	v_add3_u32 v0, v1, v0, s0
	v_cmp_o_f32_e32 vcc, v1, v1
	v_mov_b32_e32 v2, 0x7fc0
	v_cndmask_b32_sdwa v0, v2, v0, vcc dst_sel:DWORD dst_unused:UNUSED_PAD src0_sel:DWORD src1_sel:WORD_1
	global_store_short v[3:4], v0, off
	s_mov_b64 s[8:9], -1
	s_mov_b64 s[0:1], 0
.LBB15_386:
	s_mov_b64 s[10:11], 0
.LBB15_387:
	s_and_b64 vcc, exec, s[10:11]
	s_cbranch_vccz .LBB15_390
; %bb.388:
	s_cmp_eq_u32 s15, 11
	s_mov_b64 s[0:1], -1
	s_cbranch_scc0 .LBB15_390
; %bb.389:
	v_cmp_neq_f32_e32 vcc, 0, v1
	v_cndmask_b32_e64 v0, 0, 1, vcc
	s_mov_b64 s[8:9], -1
	s_mov_b64 s[0:1], 0
	global_store_byte v[3:4], v0, off
.LBB15_390:
	s_mov_b64 s[10:11], 0
.LBB15_391:
	s_and_b64 vcc, exec, s[10:11]
	s_cbranch_vccz .LBB15_430
; %bb.392:
	s_and_b32 s10, 0xffff, s14
	s_cmp_lt_i32 s10, 5
	s_mov_b64 s[8:9], -1
	s_cbranch_scc1 .LBB15_413
; %bb.393:
	s_cmp_lt_i32 s10, 8
	s_cbranch_scc1 .LBB15_403
; %bb.394:
	s_cmp_lt_i32 s10, 9
	s_cbranch_scc1 .LBB15_400
; %bb.395:
	s_cmp_gt_i32 s10, 9
	s_cbranch_scc0 .LBB15_397
; %bb.396:
	v_cvt_f64_f32_e32 v[9:10], v1
	v_mov_b32_e32 v11, 0
	v_mov_b32_e32 v12, v11
	s_mov_b64 s[8:9], 0
	global_store_dwordx4 v[3:4], v[9:12], off
.LBB15_397:
	s_andn2_b64 vcc, exec, s[8:9]
	s_cbranch_vccnz .LBB15_399
; %bb.398:
	v_mov_b32_e32 v2, 0
	global_store_dwordx2 v[3:4], v[1:2], off
.LBB15_399:
	s_mov_b64 s[8:9], 0
.LBB15_400:
	s_andn2_b64 vcc, exec, s[8:9]
	s_cbranch_vccnz .LBB15_402
; %bb.401:
	v_cvt_f16_f32_e32 v0, v1
	global_store_dword v[3:4], v0, off
.LBB15_402:
	s_mov_b64 s[8:9], 0
.LBB15_403:
	s_andn2_b64 vcc, exec, s[8:9]
	s_cbranch_vccnz .LBB15_412
; %bb.404:
	s_cmp_lt_i32 s10, 6
	s_mov_b64 s[8:9], -1
	s_cbranch_scc1 .LBB15_410
; %bb.405:
	s_cmp_gt_i32 s10, 6
	s_cbranch_scc0 .LBB15_407
; %bb.406:
	v_cvt_f64_f32_e32 v[5:6], v1
	s_mov_b64 s[8:9], 0
	global_store_dwordx2 v[3:4], v[5:6], off
.LBB15_407:
	s_andn2_b64 vcc, exec, s[8:9]
	s_cbranch_vccnz .LBB15_409
; %bb.408:
	global_store_dword v[3:4], v1, off
.LBB15_409:
	s_mov_b64 s[8:9], 0
.LBB15_410:
	s_andn2_b64 vcc, exec, s[8:9]
	s_cbranch_vccnz .LBB15_412
; %bb.411:
	v_cvt_f16_f32_e32 v0, v1
	global_store_short v[3:4], v0, off
.LBB15_412:
	s_mov_b64 s[8:9], 0
.LBB15_413:
	s_andn2_b64 vcc, exec, s[8:9]
	s_cbranch_vccnz .LBB15_429
; %bb.414:
	s_cmp_lt_i32 s10, 2
	s_mov_b64 s[8:9], -1
	s_cbranch_scc1 .LBB15_424
; %bb.415:
	s_cmp_lt_i32 s10, 3
	s_cbranch_scc1 .LBB15_421
; %bb.416:
	s_cmp_gt_i32 s10, 3
	s_cbranch_scc0 .LBB15_418
; %bb.417:
	v_trunc_f32_e32 v0, v1
	s_mov_b32 s8, 0x2f800000
	v_mul_f32_e64 v2, |v0|, s8
	v_floor_f32_e32 v2, v2
	s_mov_b32 s8, 0xcf800000
	v_cvt_u32_f32_e32 v5, v2
	v_fma_f32 v2, v2, s8, |v0|
	v_cvt_u32_f32_e32 v2, v2
	v_ashrrev_i32_e32 v0, 31, v0
	v_xor_b32_e32 v6, v5, v0
	s_mov_b64 s[8:9], 0
	v_xor_b32_e32 v2, v2, v0
	v_sub_co_u32_e32 v5, vcc, v2, v0
	v_subb_co_u32_e32 v6, vcc, v6, v0, vcc
	global_store_dwordx2 v[3:4], v[5:6], off
.LBB15_418:
	s_andn2_b64 vcc, exec, s[8:9]
	s_cbranch_vccnz .LBB15_420
; %bb.419:
	v_cvt_i32_f32_e32 v0, v1
	global_store_dword v[3:4], v0, off
.LBB15_420:
	s_mov_b64 s[8:9], 0
.LBB15_421:
	s_andn2_b64 vcc, exec, s[8:9]
	s_cbranch_vccnz .LBB15_423
; %bb.422:
	v_cvt_i32_f32_e32 v0, v1
	global_store_short v[3:4], v0, off
.LBB15_423:
	s_mov_b64 s[8:9], 0
.LBB15_424:
	s_andn2_b64 vcc, exec, s[8:9]
	s_cbranch_vccnz .LBB15_429
; %bb.425:
	s_cmp_gt_i32 s10, 0
	s_mov_b64 s[8:9], -1
	s_cbranch_scc0 .LBB15_427
; %bb.426:
	v_cvt_i32_f32_e32 v0, v1
	s_mov_b64 s[8:9], 0
	global_store_byte v[3:4], v0, off
.LBB15_427:
	s_andn2_b64 vcc, exec, s[8:9]
	s_cbranch_vccnz .LBB15_429
; %bb.428:
	v_trunc_f32_e32 v0, v1
	s_mov_b32 s8, 0x2f800000
	v_mul_f32_e64 v1, |v0|, s8
	v_floor_f32_e32 v1, v1
	s_mov_b32 s8, 0xcf800000
	v_fma_f32 v1, v1, s8, |v0|
	v_cvt_u32_f32_e32 v1, v1
	v_ashrrev_i32_e32 v0, 31, v0
	v_xor_b32_e32 v1, v1, v0
	v_sub_u32_e32 v0, v1, v0
	global_store_byte v[3:4], v0, off
.LBB15_429:
	s_mov_b64 s[8:9], -1
.LBB15_430:
	s_andn2_b64 vcc, exec, s[8:9]
	s_cbranch_vccnz .LBB15_432
; %bb.431:
	v_add_u32_e32 v8, 0x80, v8
	s_mov_b64 s[8:9], -1
	s_branch .LBB15_545
.LBB15_432:
	s_mov_b64 s[8:9], 0
	s_branch .LBB15_544
.LBB15_433:
	s_mov_b64 s[2:3], -1
                                        ; implicit-def: $vgpr3
.LBB15_434:
	s_mov_b64 s[8:9], 0
.LBB15_435:
	s_and_b64 vcc, exec, s[8:9]
	s_cbranch_vccz .LBB15_439
; %bb.436:
	s_cmp_eq_u32 s12, 29
	s_cbranch_scc0 .LBB15_438
; %bb.437:
	global_load_dwordx2 v[3:4], v[1:2], off
	s_mov_b64 s[0:1], -1
	s_mov_b64 s[2:3], 0
	s_mov_b64 s[8:9], 0
	s_waitcnt vmcnt(0)
	v_ffbh_u32_e32 v5, v4
	v_min_u32_e32 v5, 32, v5
	v_lshlrev_b64 v[3:4], v5, v[3:4]
	v_min_u32_e32 v3, 1, v3
	v_or_b32_e32 v3, v4, v3
	v_cvt_f32_u32_e32 v3, v3
	v_sub_u32_e32 v4, 32, v5
	v_ldexp_f32 v3, v3, v4
	s_branch .LBB15_440
.LBB15_438:
	s_mov_b64 s[2:3], -1
                                        ; implicit-def: $vgpr3
.LBB15_439:
	s_mov_b64 s[8:9], 0
.LBB15_440:
	s_and_b64 vcc, exec, s[8:9]
	s_cbranch_vccz .LBB15_458
; %bb.441:
	s_cmp_lt_i32 s12, 27
	s_cbranch_scc1 .LBB15_444
; %bb.442:
	s_cmp_gt_i32 s12, 27
	s_cbranch_scc0 .LBB15_445
; %bb.443:
	global_load_dword v3, v[1:2], off
	s_mov_b64 s[0:1], 0
	s_waitcnt vmcnt(0)
	v_cvt_f32_u32_e32 v3, v3
	s_branch .LBB15_446
.LBB15_444:
	s_mov_b64 s[0:1], -1
                                        ; implicit-def: $vgpr3
	s_branch .LBB15_449
.LBB15_445:
	s_mov_b64 s[0:1], -1
                                        ; implicit-def: $vgpr3
.LBB15_446:
	s_andn2_b64 vcc, exec, s[0:1]
	s_cbranch_vccnz .LBB15_448
; %bb.447:
	global_load_ushort v3, v[1:2], off
	s_waitcnt vmcnt(0)
	v_cvt_f32_u32_e32 v3, v3
.LBB15_448:
	s_mov_b64 s[0:1], 0
.LBB15_449:
	s_andn2_b64 vcc, exec, s[0:1]
	s_cbranch_vccnz .LBB15_457
; %bb.450:
	global_load_ubyte v4, v[1:2], off
	s_movk_i32 s0, 0x7f
	s_waitcnt vmcnt(0)
	v_cmp_lt_i16_e32 vcc, s0, v4
	s_mov_b64 s[0:1], 0
	s_and_saveexec_b64 s[8:9], vcc
	s_xor_b64 s[8:9], exec, s[8:9]
	s_cbranch_execz .LBB15_471
; %bb.451:
	s_movk_i32 s0, 0x80
	v_cmp_eq_u16_e32 vcc, s0, v4
	s_mov_b64 s[0:1], -1
	s_and_saveexec_b64 s[10:11], vcc
; %bb.452:
	s_xor_b64 s[0:1], exec, -1
; %bb.453:
	s_or_b64 exec, exec, s[10:11]
	s_and_b64 s[0:1], s[0:1], exec
	s_or_saveexec_b64 s[8:9], s[8:9]
	v_mov_b32_e32 v3, 0x7f800001
	s_xor_b64 exec, exec, s[8:9]
	s_cbranch_execnz .LBB15_472
.LBB15_454:
	s_or_b64 exec, exec, s[8:9]
	s_and_saveexec_b64 s[8:9], s[0:1]
	s_cbranch_execz .LBB15_456
.LBB15_455:
	v_lshlrev_b32_e32 v3, 24, v4
	v_and_b32_e32 v4, 0xffff, v4
	v_and_b32_e32 v5, 7, v4
	v_ffbh_u32_e32 v7, v5
	v_min_u32_e32 v7, 32, v7
	v_subrev_u32_e32 v9, 28, v7
	v_bfe_u32 v6, v4, 3, 4
	v_lshlrev_b32_e32 v4, v9, v4
	v_sub_u32_e32 v7, 29, v7
	v_and_b32_e32 v4, 7, v4
	v_cmp_eq_u32_e32 vcc, 0, v6
	v_cndmask_b32_e32 v6, v6, v7, vcc
	v_cndmask_b32_e32 v4, v5, v4, vcc
	v_mov_b32_e32 v5, 0x3b800000
	v_lshlrev_b32_e32 v4, 20, v4
	v_and_b32_e32 v3, 0x80000000, v3
	v_lshl_add_u32 v5, v6, 23, v5
	v_or3_b32 v3, v3, v5, v4
.LBB15_456:
	s_or_b64 exec, exec, s[8:9]
.LBB15_457:
	s_mov_b64 s[0:1], -1
.LBB15_458:
	s_mov_b64 s[8:9], 0
.LBB15_459:
	s_and_b64 vcc, exec, s[8:9]
	s_cbranch_vccz .LBB15_494
; %bb.460:
	s_cmp_gt_i32 s12, 22
	s_cbranch_scc0 .LBB15_470
; %bb.461:
	s_cmp_lt_i32 s12, 24
	s_cbranch_scc1 .LBB15_473
; %bb.462:
	s_cmp_gt_i32 s12, 24
	s_cbranch_scc0 .LBB15_474
; %bb.463:
	global_load_ubyte v4, v[1:2], off
	s_movk_i32 s0, 0x7f
	s_waitcnt vmcnt(0)
	v_cmp_lt_i16_e32 vcc, s0, v4
	s_mov_b64 s[0:1], 0
	s_and_saveexec_b64 s[8:9], vcc
	s_xor_b64 s[8:9], exec, s[8:9]
	s_cbranch_execz .LBB15_486
; %bb.464:
	s_movk_i32 s0, 0x80
	v_cmp_eq_u16_e32 vcc, s0, v4
	s_mov_b64 s[0:1], -1
	s_and_saveexec_b64 s[10:11], vcc
; %bb.465:
	s_xor_b64 s[0:1], exec, -1
; %bb.466:
	s_or_b64 exec, exec, s[10:11]
	s_and_b64 s[0:1], s[0:1], exec
	s_or_saveexec_b64 s[8:9], s[8:9]
	v_mov_b32_e32 v3, 0x7f800001
	s_xor_b64 exec, exec, s[8:9]
	s_cbranch_execnz .LBB15_487
.LBB15_467:
	s_or_b64 exec, exec, s[8:9]
	s_and_saveexec_b64 s[8:9], s[0:1]
	s_cbranch_execz .LBB15_469
.LBB15_468:
	v_lshlrev_b32_e32 v3, 24, v4
	v_and_b32_e32 v4, 0xffff, v4
	v_and_b32_e32 v5, 3, v4
	v_ffbh_u32_e32 v7, v5
	v_min_u32_e32 v7, 32, v7
	v_subrev_u32_e32 v9, 29, v7
	v_bfe_u32 v6, v4, 2, 5
	v_lshlrev_b32_e32 v4, v9, v4
	v_sub_u32_e32 v7, 30, v7
	v_and_b32_e32 v4, 3, v4
	v_cmp_eq_u32_e32 vcc, 0, v6
	v_cndmask_b32_e32 v6, v6, v7, vcc
	v_cndmask_b32_e32 v4, v5, v4, vcc
	v_mov_b32_e32 v5, 0x37800000
	v_lshlrev_b32_e32 v4, 21, v4
	v_and_b32_e32 v3, 0x80000000, v3
	v_lshl_add_u32 v5, v6, 23, v5
	v_or3_b32 v3, v3, v5, v4
.LBB15_469:
	s_or_b64 exec, exec, s[8:9]
	s_mov_b64 s[0:1], 0
	s_branch .LBB15_475
.LBB15_470:
	s_mov_b64 s[8:9], -1
                                        ; implicit-def: $vgpr3
	s_branch .LBB15_481
.LBB15_471:
	s_or_saveexec_b64 s[8:9], s[8:9]
	v_mov_b32_e32 v3, 0x7f800001
	s_xor_b64 exec, exec, s[8:9]
	s_cbranch_execz .LBB15_454
.LBB15_472:
	v_cmp_ne_u16_e32 vcc, 0, v4
	s_andn2_b64 s[0:1], s[0:1], exec
	s_and_b64 s[10:11], vcc, exec
	v_mov_b32_e32 v3, 0
	s_or_b64 s[0:1], s[0:1], s[10:11]
	s_or_b64 exec, exec, s[8:9]
	s_and_saveexec_b64 s[8:9], s[0:1]
	s_cbranch_execnz .LBB15_455
	s_branch .LBB15_456
.LBB15_473:
	s_mov_b64 s[0:1], -1
                                        ; implicit-def: $vgpr3
	s_branch .LBB15_478
.LBB15_474:
	s_mov_b64 s[0:1], -1
                                        ; implicit-def: $vgpr3
.LBB15_475:
	s_and_b64 vcc, exec, s[0:1]
	s_cbranch_vccz .LBB15_477
; %bb.476:
	global_load_ubyte v3, v[1:2], off
	s_mov_b32 s0, 0x7f800000
	s_waitcnt vmcnt(0)
	v_lshlrev_b32_e32 v3, 24, v3
	v_and_b32_e32 v4, 0x7f000000, v3
	v_ffbh_u32_e32 v5, v4
	v_min_u32_e32 v5, 32, v5
	v_sub_u32_e64 v5, v5, 4 clamp
	v_lshlrev_b32_e32 v7, v5, v4
	v_lshlrev_b32_e32 v5, 23, v5
	v_lshrrev_b32_e32 v7, 4, v7
	v_add_u32_e32 v6, 0x1000000, v4
	v_sub_u32_e32 v5, v7, v5
	v_ashrrev_i32_e32 v6, 8, v6
	v_add_u32_e32 v5, 0x3c000000, v5
	v_and_or_b32 v5, v6, s0, v5
	v_cmp_ne_u32_e32 vcc, 0, v4
	v_cndmask_b32_e32 v4, 0, v5, vcc
	s_brev_b32 s0, 1
	v_and_or_b32 v3, v3, s0, v4
.LBB15_477:
	s_mov_b64 s[0:1], 0
.LBB15_478:
	s_andn2_b64 vcc, exec, s[0:1]
	s_cbranch_vccnz .LBB15_480
; %bb.479:
	global_load_ubyte v3, v[1:2], off
	s_movk_i32 s0, 0x7f00
	s_brev_b32 s1, 16
	s_waitcnt vmcnt(0)
	v_lshlrev_b16_e32 v4, 8, v3
	v_lshlrev_b32_e32 v3, 25, v3
	v_lshrrev_b32_e32 v5, 4, v3
	v_and_or_b32 v6, v4, s0, 0.5
	v_or_b32_e32 v5, 0x70000000, v5
	v_add_f32_e32 v6, -0.5, v6
	v_mul_f32_e32 v5, 0x7800000, v5
	v_cmp_gt_u32_e32 vcc, s1, v3
	v_bfe_i32 v4, v4, 0, 16
	v_cndmask_b32_e32 v3, v5, v6, vcc
	s_brev_b32 s0, 1
	v_and_or_b32 v3, v4, s0, v3
.LBB15_480:
	s_mov_b64 s[8:9], 0
	s_mov_b64 s[0:1], -1
.LBB15_481:
	s_andn2_b64 vcc, exec, s[8:9]
	s_cbranch_vccnz .LBB15_494
; %bb.482:
	s_cmp_gt_i32 s12, 14
	s_cbranch_scc0 .LBB15_485
; %bb.483:
	s_cmp_eq_u32 s12, 15
	s_cbranch_scc0 .LBB15_488
; %bb.484:
	global_load_ushort v3, v[1:2], off
	s_mov_b64 s[0:1], -1
	s_mov_b64 s[2:3], 0
	s_waitcnt vmcnt(0)
	v_lshlrev_b32_e32 v3, 16, v3
	s_branch .LBB15_489
.LBB15_485:
	s_mov_b64 s[8:9], -1
                                        ; implicit-def: $vgpr3
	s_branch .LBB15_490
.LBB15_486:
	s_or_saveexec_b64 s[8:9], s[8:9]
	v_mov_b32_e32 v3, 0x7f800001
	s_xor_b64 exec, exec, s[8:9]
	s_cbranch_execz .LBB15_467
.LBB15_487:
	v_cmp_ne_u16_e32 vcc, 0, v4
	s_andn2_b64 s[0:1], s[0:1], exec
	s_and_b64 s[10:11], vcc, exec
	v_mov_b32_e32 v3, 0
	s_or_b64 s[0:1], s[0:1], s[10:11]
	s_or_b64 exec, exec, s[8:9]
	s_and_saveexec_b64 s[8:9], s[0:1]
	s_cbranch_execnz .LBB15_468
	s_branch .LBB15_469
.LBB15_488:
	s_mov_b64 s[2:3], -1
                                        ; implicit-def: $vgpr3
.LBB15_489:
	s_mov_b64 s[8:9], 0
.LBB15_490:
	s_and_b64 vcc, exec, s[8:9]
	s_cbranch_vccz .LBB15_494
; %bb.491:
	s_cmp_eq_u32 s12, 11
	s_cbranch_scc0 .LBB15_493
; %bb.492:
	global_load_ubyte v3, v[1:2], off
	s_mov_b64 s[0:1], -1
	s_mov_b64 s[2:3], 0
	s_waitcnt vmcnt(0)
	v_cmp_ne_u16_e32 vcc, 0, v3
	v_cndmask_b32_e64 v3, 0, 1.0, vcc
	s_branch .LBB15_494
.LBB15_493:
	s_mov_b64 s[2:3], -1
                                        ; implicit-def: $vgpr3
.LBB15_494:
	s_branch .LBB15_295
.LBB15_495:
	s_cmp_lt_i32 s12, 5
	s_cbranch_scc1 .LBB15_500
; %bb.496:
	s_cmp_lt_i32 s12, 8
	s_cbranch_scc1 .LBB15_501
; %bb.497:
	;; [unrolled: 3-line block ×3, first 2 shown]
	s_cmp_gt_i32 s12, 9
	s_cbranch_scc0 .LBB15_503
; %bb.499:
	global_load_dwordx2 v[3:4], v[1:2], off
	s_mov_b64 s[0:1], 0
	s_waitcnt vmcnt(0)
	v_cvt_f32_f64_e32 v3, v[3:4]
	s_branch .LBB15_504
.LBB15_500:
	s_mov_b64 s[0:1], -1
                                        ; implicit-def: $vgpr3
	s_branch .LBB15_522
.LBB15_501:
	s_mov_b64 s[0:1], -1
                                        ; implicit-def: $vgpr3
	s_branch .LBB15_510
.LBB15_502:
	s_mov_b64 s[0:1], -1
                                        ; implicit-def: $vgpr3
	s_branch .LBB15_507
.LBB15_503:
	s_mov_b64 s[0:1], -1
                                        ; implicit-def: $vgpr3
.LBB15_504:
	s_andn2_b64 vcc, exec, s[0:1]
	s_cbranch_vccnz .LBB15_506
; %bb.505:
	global_load_dword v3, v[1:2], off
.LBB15_506:
	s_mov_b64 s[0:1], 0
.LBB15_507:
	s_andn2_b64 vcc, exec, s[0:1]
	s_cbranch_vccnz .LBB15_509
; %bb.508:
	global_load_dword v3, v[1:2], off
	s_waitcnt vmcnt(0)
	v_cvt_f32_f16_e32 v3, v3
.LBB15_509:
	s_mov_b64 s[0:1], 0
.LBB15_510:
	s_andn2_b64 vcc, exec, s[0:1]
	s_cbranch_vccnz .LBB15_521
; %bb.511:
	s_cmp_lt_i32 s12, 6
	s_cbranch_scc1 .LBB15_514
; %bb.512:
	s_cmp_gt_i32 s12, 6
	s_cbranch_scc0 .LBB15_515
; %bb.513:
	global_load_dwordx2 v[3:4], v[1:2], off
	s_mov_b64 s[0:1], 0
	s_waitcnt vmcnt(0)
	v_cvt_f32_f64_e32 v3, v[3:4]
	s_branch .LBB15_516
.LBB15_514:
	s_mov_b64 s[0:1], -1
                                        ; implicit-def: $vgpr3
	s_branch .LBB15_519
.LBB15_515:
	s_mov_b64 s[0:1], -1
                                        ; implicit-def: $vgpr3
.LBB15_516:
	s_andn2_b64 vcc, exec, s[0:1]
	s_cbranch_vccnz .LBB15_518
; %bb.517:
	global_load_dword v3, v[1:2], off
.LBB15_518:
	s_mov_b64 s[0:1], 0
.LBB15_519:
	s_andn2_b64 vcc, exec, s[0:1]
	s_cbranch_vccnz .LBB15_521
; %bb.520:
	global_load_ushort v3, v[1:2], off
	s_waitcnt vmcnt(0)
	v_cvt_f32_f16_e32 v3, v3
.LBB15_521:
	s_mov_b64 s[0:1], 0
.LBB15_522:
	s_andn2_b64 vcc, exec, s[0:1]
	s_cbranch_vccnz .LBB15_542
; %bb.523:
	s_cmp_lt_i32 s12, 2
	s_cbranch_scc1 .LBB15_527
; %bb.524:
	s_cmp_lt_i32 s12, 3
	s_cbranch_scc1 .LBB15_528
; %bb.525:
	s_cmp_gt_i32 s12, 3
	s_cbranch_scc0 .LBB15_529
; %bb.526:
	global_load_dwordx2 v[3:4], v[1:2], off
	s_mov_b64 s[0:1], 0
	s_waitcnt vmcnt(0)
	v_xor_b32_e32 v6, v3, v4
	v_ffbh_i32_e32 v5, v4
	v_ashrrev_i32_e32 v6, 31, v6
	v_add_u32_e32 v5, -1, v5
	v_add_u32_e32 v6, 32, v6
	v_min_u32_e32 v5, v5, v6
	v_lshlrev_b64 v[3:4], v5, v[3:4]
	v_min_u32_e32 v3, 1, v3
	v_or_b32_e32 v3, v4, v3
	v_cvt_f32_i32_e32 v3, v3
	v_sub_u32_e32 v4, 32, v5
	v_ldexp_f32 v3, v3, v4
	s_branch .LBB15_530
.LBB15_527:
	s_mov_b64 s[0:1], -1
                                        ; implicit-def: $vgpr3
	s_branch .LBB15_536
.LBB15_528:
	s_mov_b64 s[0:1], -1
                                        ; implicit-def: $vgpr3
	s_branch .LBB15_533
.LBB15_529:
	s_mov_b64 s[0:1], -1
                                        ; implicit-def: $vgpr3
.LBB15_530:
	s_andn2_b64 vcc, exec, s[0:1]
	s_cbranch_vccnz .LBB15_532
; %bb.531:
	global_load_dword v3, v[1:2], off
	s_waitcnt vmcnt(0)
	v_cvt_f32_i32_e32 v3, v3
.LBB15_532:
	s_mov_b64 s[0:1], 0
.LBB15_533:
	s_andn2_b64 vcc, exec, s[0:1]
	s_cbranch_vccnz .LBB15_535
; %bb.534:
	global_load_sshort v3, v[1:2], off
	s_waitcnt vmcnt(0)
	v_cvt_f32_i32_e32 v3, v3
.LBB15_535:
	s_mov_b64 s[0:1], 0
.LBB15_536:
	s_andn2_b64 vcc, exec, s[0:1]
	s_cbranch_vccnz .LBB15_542
; %bb.537:
	s_cmp_gt_i32 s12, 0
	s_cbranch_scc0 .LBB15_539
; %bb.538:
	global_load_sbyte v3, v[1:2], off
	s_mov_b64 s[0:1], 0
	s_waitcnt vmcnt(0)
	v_cvt_f32_i32_e32 v3, v3
	s_branch .LBB15_540
.LBB15_539:
	s_mov_b64 s[0:1], -1
                                        ; implicit-def: $vgpr3
.LBB15_540:
	s_andn2_b64 vcc, exec, s[0:1]
	s_cbranch_vccnz .LBB15_542
; %bb.541:
	global_load_ubyte v1, v[1:2], off
	s_waitcnt vmcnt(0)
	v_cvt_f32_ubyte0_e32 v3, v1
.LBB15_542:
	s_branch .LBB15_296
.LBB15_543:
	s_mov_b64 s[8:9], 0
	s_mov_b64 s[0:1], s[54:55]
.LBB15_544:
                                        ; implicit-def: $vgpr8
.LBB15_545:
	s_andn2_b64 s[10:11], s[54:55], exec
	s_and_b64 s[0:1], s[0:1], exec
	s_or_b64 s[62:63], s[10:11], s[0:1]
	s_andn2_b64 s[0:1], s[56:57], exec
	s_and_b64 s[2:3], s[2:3], exec
	s_or_b64 s[60:61], s[0:1], s[2:3]
	s_orn2_b64 s[0:1], s[8:9], exec
.LBB15_546:
	s_or_b64 exec, exec, s[64:65]
	s_mov_b64 s[2:3], 0
	s_mov_b64 s[8:9], 0
	;; [unrolled: 1-line block ×3, first 2 shown]
                                        ; implicit-def: $vgpr1_vgpr2
                                        ; implicit-def: $vgpr0
                                        ; implicit-def: $vgpr5
	s_and_saveexec_b64 s[64:65], s[0:1]
	s_cbranch_execz .LBB15_923
; %bb.547:
	v_cmp_gt_i32_e32 vcc, s72, v8
	s_mov_b64 s[2:3], -1
	s_mov_b64 s[68:69], s[60:61]
	s_mov_b64 s[70:71], s[62:63]
	s_and_saveexec_b64 s[66:67], vcc
	s_cbranch_execz .LBB15_823
; %bb.548:
	s_andn2_b64 vcc, exec, s[40:41]
	s_cbranch_vccnz .LBB15_553
; %bb.549:
	s_andn2_b64 vcc, exec, s[52:53]
	s_cbranch_vccnz .LBB15_554
; %bb.550:
	s_add_i32 s77, s76, 1
	s_cmp_eq_u32 s74, 2
	s_cbranch_scc1 .LBB15_555
; %bb.551:
	s_and_b32 s73, s77, 28
	v_mov_b32_e32 v2, 0
	s_mov_b32 s78, 0
	s_mov_b64 s[68:69], s[34:35]
	s_mov_b64 s[70:71], s[50:51]
	v_mov_b32_e32 v0, 0
	v_mov_b32_e32 v1, v8
.LBB15_552:                             ; =>This Inner Loop Header: Depth=1
	s_load_dwordx8 s[16:23], s[68:69], 0x4
	s_load_dwordx4 s[0:3], s[68:69], 0x24
	s_load_dwordx8 s[8:15], s[70:71], 0x0
	s_add_u32 s68, s68, 48
	s_addc_u32 s69, s69, 0
	s_waitcnt vmcnt(0) lgkmcnt(0)
	v_mul_hi_u32 v3, s17, v1
	s_add_i32 s78, s78, 4
	s_add_u32 s70, s70, 32
	s_addc_u32 s71, s71, 0
	v_add_u32_e32 v3, v1, v3
	v_lshrrev_b32_e32 v3, s18, v3
	v_mul_lo_u32 v4, v3, s16
	v_mul_hi_u32 v5, s20, v3
	s_cmp_eq_u32 s73, s78
	v_sub_u32_e32 v1, v1, v4
	v_add_u32_e32 v4, v3, v5
	v_mul_lo_u32 v5, v1, s8
	v_mul_lo_u32 v6, v1, s9
	v_lshrrev_b32_e32 v1, s21, v4
	v_mul_lo_u32 v4, v1, s19
	v_mul_hi_u32 v7, s23, v1
	v_sub_u32_e32 v3, v3, v4
	v_add_u32_e32 v4, v1, v7
	v_lshrrev_b32_e32 v4, s0, v4
	v_mul_hi_u32 v9, s2, v4
	v_mul_lo_u32 v10, v4, s22
	v_mul_lo_u32 v7, v3, s10
	;; [unrolled: 1-line block ×3, first 2 shown]
	v_sub_u32_e32 v10, v1, v10
	v_add_u32_e32 v1, v4, v9
	v_lshrrev_b32_e32 v1, s3, v1
	v_mul_lo_u32 v9, v1, s1
	v_mul_lo_u32 v11, v10, s12
	;; [unrolled: 1-line block ×3, first 2 shown]
	v_add3_u32 v0, v5, v0, v7
	v_sub_u32_e32 v4, v4, v9
	v_mul_lo_u32 v9, v4, s14
	v_mul_lo_u32 v4, v4, s15
	v_add3_u32 v2, v6, v2, v3
	v_add3_u32 v0, v11, v0, v9
	;; [unrolled: 1-line block ×3, first 2 shown]
	s_cbranch_scc0 .LBB15_552
	s_branch .LBB15_556
.LBB15_553:
	s_mov_b64 s[0:1], -1
                                        ; implicit-def: $vgpr0
                                        ; implicit-def: $vgpr2
	s_branch .LBB15_560
.LBB15_554:
	v_mov_b32_e32 v0, 0
	v_mov_b32_e32 v2, 0
	s_branch .LBB15_559
.LBB15_555:
	s_mov_b32 s73, 0
	v_mov_b32_e32 v0, 0
	v_mov_b32_e32 v2, 0
	;; [unrolled: 1-line block ×3, first 2 shown]
.LBB15_556:
	s_and_b32 s8, s77, 3
	s_cmp_eq_u32 s8, 0
	s_cbranch_scc1 .LBB15_559
; %bb.557:
	s_lshl_b32 s0, s73, 3
	s_add_u32 s0, s34, s0
	s_addc_u32 s1, s35, 0
	s_add_u32 s0, s0, 0xc4
	s_addc_u32 s1, s1, 0
	s_mul_i32 s2, s73, 12
	s_add_u32 s2, s34, s2
	s_addc_u32 s3, s35, 0
.LBB15_558:                             ; =>This Inner Loop Header: Depth=1
	s_load_dwordx2 s[10:11], s[2:3], 0x4
	s_load_dword s9, s[2:3], 0xc
	s_load_dwordx2 s[12:13], s[0:1], 0x0
	s_add_u32 s2, s2, 12
	s_addc_u32 s3, s3, 0
	s_waitcnt vmcnt(0) lgkmcnt(0)
	v_mul_hi_u32 v3, s11, v1
	s_add_u32 s0, s0, 8
	s_addc_u32 s1, s1, 0
	s_add_i32 s8, s8, -1
	v_add_u32_e32 v3, v1, v3
	v_lshrrev_b32_e32 v4, s9, v3
	v_mul_lo_u32 v3, v4, s10
	s_cmp_lg_u32 s8, 0
	v_sub_u32_e32 v3, v1, v3
	v_mad_u64_u32 v[0:1], s[10:11], v3, s12, v[0:1]
	v_mad_u64_u32 v[2:3], s[10:11], v3, s13, v[2:3]
	v_mov_b32_e32 v1, v4
	s_cbranch_scc1 .LBB15_558
.LBB15_559:
	s_mov_b64 s[0:1], 0
.LBB15_560:
	s_andn2_b64 vcc, exec, s[0:1]
	s_cbranch_vccnz .LBB15_563
; %bb.561:
	v_mul_hi_u32 v0, s29, v8
	s_andn2_b64 vcc, exec, s[48:49]
	v_add_u32_e32 v0, v8, v0
	v_lshrrev_b32_e32 v1, s30, v0
	v_mul_lo_u32 v0, v1, s28
	v_sub_u32_e32 v2, v8, v0
	v_mul_lo_u32 v0, v2, s36
	v_mul_lo_u32 v2, v2, s37
	s_cbranch_vccnz .LBB15_563
; %bb.562:
	s_waitcnt vmcnt(0)
	v_mul_hi_u32 v3, s46, v1
	v_add_u32_e32 v3, v1, v3
	v_lshrrev_b32_e32 v3, s47, v3
	v_mul_lo_u32 v3, v3, s31
	v_sub_u32_e32 v3, v1, v3
	v_mad_u64_u32 v[0:1], s[0:1], v3, s38, v[0:1]
	v_mad_u64_u32 v[2:3], s[0:1], v3, s39, v[2:3]
.LBB15_563:
	s_waitcnt vmcnt(0)
	v_mov_b32_e32 v3, s27
	s_and_b32 s12, 0xffff, s75
	v_add_co_u32_e32 v1, vcc, s26, v2
	s_cmp_lt_i32 s12, 11
	v_addc_co_u32_e32 v2, vcc, 0, v3, vcc
	s_cbranch_scc1 .LBB15_570
; %bb.564:
	s_cmp_gt_i32 s12, 25
	s_cbranch_scc0 .LBB15_571
; %bb.565:
	s_cmp_gt_i32 s12, 28
	s_cbranch_scc0 .LBB15_572
	;; [unrolled: 3-line block ×4, first 2 shown]
; %bb.568:
	s_cmp_eq_u32 s12, 46
	s_mov_b64 s[8:9], 0
	s_cbranch_scc0 .LBB15_579
; %bb.569:
	global_load_dword v3, v[1:2], off
	s_mov_b64 s[0:1], -1
	s_mov_b64 s[2:3], 0
	s_waitcnt vmcnt(0)
	v_lshlrev_b32_e32 v3, 16, v3
	s_branch .LBB15_580
.LBB15_570:
	s_mov_b64 s[8:9], -1
	s_mov_b64 s[0:1], 0
                                        ; implicit-def: $vgpr3
	s_mov_b64 s[2:3], s[60:61]
	s_branch .LBB15_645
.LBB15_571:
	s_mov_b64 s[8:9], -1
	s_mov_b64 s[0:1], 0
	s_mov_b64 s[2:3], s[60:61]
                                        ; implicit-def: $vgpr3
	s_branch .LBB15_609
.LBB15_572:
	s_mov_b64 s[8:9], -1
	s_mov_b64 s[0:1], 0
	s_mov_b64 s[2:3], s[60:61]
                                        ; implicit-def: $vgpr3
	s_branch .LBB15_590
.LBB15_573:
	s_mov_b64 s[8:9], -1
	s_mov_b64 s[0:1], 0
	s_mov_b64 s[2:3], s[60:61]
                                        ; implicit-def: $vgpr3
	s_branch .LBB15_585
.LBB15_574:
	s_andn2_saveexec_b64 s[12:13], s[12:13]
	s_cbranch_execz .LBB15_343
.LBB15_575:
	s_mov_b32 s16, 0x46000000
	v_add_f32_e64 v0, |v1|, s16
	v_and_b32_e32 v0, 0xff, v0
	v_cmp_ne_u32_e32 vcc, 0, v0
	s_andn2_b64 s[10:11], s[10:11], exec
	s_and_b64 s[16:17], vcc, exec
	s_or_b64 s[10:11], s[10:11], s[16:17]
	s_or_b64 exec, exec, s[12:13]
	v_mov_b32_e32 v2, 0
	s_and_saveexec_b64 s[12:13], s[10:11]
	s_cbranch_execnz .LBB15_344
	s_branch .LBB15_345
.LBB15_576:
	s_mov_b64 s[8:9], -1
	s_mov_b64 s[0:1], 0
	s_mov_b64 s[2:3], s[60:61]
                                        ; implicit-def: $vgpr3
	s_branch .LBB15_580
.LBB15_577:
	s_andn2_saveexec_b64 s[12:13], s[12:13]
	s_cbranch_execz .LBB15_356
.LBB15_578:
	s_mov_b32 s16, 0x42800000
	v_add_f32_e64 v0, |v1|, s16
	v_and_b32_e32 v0, 0xff, v0
	v_cmp_ne_u32_e32 vcc, 0, v0
	s_andn2_b64 s[10:11], s[10:11], exec
	s_and_b64 s[16:17], vcc, exec
	s_or_b64 s[10:11], s[10:11], s[16:17]
	s_or_b64 exec, exec, s[12:13]
	v_mov_b32_e32 v2, 0
	s_and_saveexec_b64 s[12:13], s[10:11]
	s_cbranch_execnz .LBB15_357
	s_branch .LBB15_358
.LBB15_579:
	s_mov_b64 s[2:3], -1
                                        ; implicit-def: $vgpr3
	s_mov_b64 s[0:1], 0
.LBB15_580:
	s_and_b64 vcc, exec, s[8:9]
	s_cbranch_vccz .LBB15_584
; %bb.581:
	s_cmp_eq_u32 s12, 44
	s_cbranch_scc0 .LBB15_583
; %bb.582:
	global_load_ubyte v3, v[1:2], off
	s_movk_i32 s2, 0xff
	v_mov_b32_e32 v4, 0x7f800001
	v_mov_b32_e32 v5, 0x400000
	s_mov_b64 s[0:1], -1
	s_waitcnt vmcnt(0)
	v_lshlrev_b32_e32 v6, 23, v3
	v_cmp_ne_u32_e32 vcc, s2, v3
	v_cndmask_b32_e32 v4, v4, v6, vcc
	v_cmp_ne_u32_e32 vcc, 0, v3
	v_cndmask_b32_e32 v3, v5, v4, vcc
	s_mov_b64 s[2:3], 0
	s_branch .LBB15_584
.LBB15_583:
	s_mov_b64 s[2:3], -1
                                        ; implicit-def: $vgpr3
.LBB15_584:
	s_mov_b64 s[8:9], 0
.LBB15_585:
	s_and_b64 vcc, exec, s[8:9]
	s_cbranch_vccz .LBB15_589
; %bb.586:
	s_cmp_eq_u32 s12, 29
	s_cbranch_scc0 .LBB15_588
; %bb.587:
	global_load_dwordx2 v[3:4], v[1:2], off
	s_mov_b64 s[0:1], -1
	s_mov_b64 s[2:3], 0
	s_mov_b64 s[8:9], 0
	s_waitcnt vmcnt(0)
	v_ffbh_u32_e32 v5, v4
	v_min_u32_e32 v5, 32, v5
	v_lshlrev_b64 v[3:4], v5, v[3:4]
	v_min_u32_e32 v3, 1, v3
	v_or_b32_e32 v3, v4, v3
	v_cvt_f32_u32_e32 v3, v3
	v_sub_u32_e32 v4, 32, v5
	v_ldexp_f32 v3, v3, v4
	s_branch .LBB15_590
.LBB15_588:
	s_mov_b64 s[2:3], -1
                                        ; implicit-def: $vgpr3
.LBB15_589:
	s_mov_b64 s[8:9], 0
.LBB15_590:
	s_and_b64 vcc, exec, s[8:9]
	s_cbranch_vccz .LBB15_608
; %bb.591:
	s_cmp_lt_i32 s12, 27
	s_cbranch_scc1 .LBB15_594
; %bb.592:
	s_cmp_gt_i32 s12, 27
	s_cbranch_scc0 .LBB15_595
; %bb.593:
	global_load_dword v3, v[1:2], off
	s_mov_b64 s[0:1], 0
	s_waitcnt vmcnt(0)
	v_cvt_f32_u32_e32 v3, v3
	s_branch .LBB15_596
.LBB15_594:
	s_mov_b64 s[0:1], -1
                                        ; implicit-def: $vgpr3
	s_branch .LBB15_599
.LBB15_595:
	s_mov_b64 s[0:1], -1
                                        ; implicit-def: $vgpr3
.LBB15_596:
	s_andn2_b64 vcc, exec, s[0:1]
	s_cbranch_vccnz .LBB15_598
; %bb.597:
	global_load_ushort v3, v[1:2], off
	s_waitcnt vmcnt(0)
	v_cvt_f32_u32_e32 v3, v3
.LBB15_598:
	s_mov_b64 s[0:1], 0
.LBB15_599:
	s_andn2_b64 vcc, exec, s[0:1]
	s_cbranch_vccnz .LBB15_607
; %bb.600:
	global_load_ubyte v4, v[1:2], off
	s_movk_i32 s0, 0x7f
	s_waitcnt vmcnt(0)
	v_cmp_lt_i16_e32 vcc, s0, v4
	s_mov_b64 s[0:1], 0
	s_and_saveexec_b64 s[8:9], vcc
	s_xor_b64 s[8:9], exec, s[8:9]
	s_cbranch_execz .LBB15_621
; %bb.601:
	s_movk_i32 s0, 0x80
	v_cmp_eq_u16_e32 vcc, s0, v4
	s_mov_b64 s[0:1], -1
	s_and_saveexec_b64 s[10:11], vcc
; %bb.602:
	s_xor_b64 s[0:1], exec, -1
; %bb.603:
	s_or_b64 exec, exec, s[10:11]
	s_and_b64 s[0:1], s[0:1], exec
	s_or_saveexec_b64 s[8:9], s[8:9]
	v_mov_b32_e32 v3, 0x7f800001
	s_xor_b64 exec, exec, s[8:9]
	s_cbranch_execnz .LBB15_622
.LBB15_604:
	s_or_b64 exec, exec, s[8:9]
	s_and_saveexec_b64 s[8:9], s[0:1]
	s_cbranch_execz .LBB15_606
.LBB15_605:
	v_lshlrev_b32_e32 v3, 24, v4
	v_and_b32_e32 v4, 0xffff, v4
	v_and_b32_e32 v5, 7, v4
	v_ffbh_u32_e32 v7, v5
	v_min_u32_e32 v7, 32, v7
	v_subrev_u32_e32 v9, 28, v7
	v_bfe_u32 v6, v4, 3, 4
	v_lshlrev_b32_e32 v4, v9, v4
	v_sub_u32_e32 v7, 29, v7
	v_and_b32_e32 v4, 7, v4
	v_cmp_eq_u32_e32 vcc, 0, v6
	v_cndmask_b32_e32 v6, v6, v7, vcc
	v_cndmask_b32_e32 v4, v5, v4, vcc
	v_mov_b32_e32 v5, 0x3b800000
	v_lshlrev_b32_e32 v4, 20, v4
	v_and_b32_e32 v3, 0x80000000, v3
	v_lshl_add_u32 v5, v6, 23, v5
	v_or3_b32 v3, v3, v5, v4
.LBB15_606:
	s_or_b64 exec, exec, s[8:9]
.LBB15_607:
	s_mov_b64 s[0:1], -1
.LBB15_608:
	s_mov_b64 s[8:9], 0
.LBB15_609:
	s_and_b64 vcc, exec, s[8:9]
	s_cbranch_vccz .LBB15_644
; %bb.610:
	s_cmp_gt_i32 s12, 22
	s_cbranch_scc0 .LBB15_620
; %bb.611:
	s_cmp_lt_i32 s12, 24
	s_cbranch_scc1 .LBB15_623
; %bb.612:
	s_cmp_gt_i32 s12, 24
	s_cbranch_scc0 .LBB15_624
; %bb.613:
	global_load_ubyte v4, v[1:2], off
	s_movk_i32 s0, 0x7f
	s_waitcnt vmcnt(0)
	v_cmp_lt_i16_e32 vcc, s0, v4
	s_mov_b64 s[0:1], 0
	s_and_saveexec_b64 s[8:9], vcc
	s_xor_b64 s[8:9], exec, s[8:9]
	s_cbranch_execz .LBB15_636
; %bb.614:
	s_movk_i32 s0, 0x80
	v_cmp_eq_u16_e32 vcc, s0, v4
	s_mov_b64 s[0:1], -1
	s_and_saveexec_b64 s[10:11], vcc
; %bb.615:
	s_xor_b64 s[0:1], exec, -1
; %bb.616:
	s_or_b64 exec, exec, s[10:11]
	s_and_b64 s[0:1], s[0:1], exec
	s_or_saveexec_b64 s[8:9], s[8:9]
	v_mov_b32_e32 v3, 0x7f800001
	s_xor_b64 exec, exec, s[8:9]
	s_cbranch_execnz .LBB15_637
.LBB15_617:
	s_or_b64 exec, exec, s[8:9]
	s_and_saveexec_b64 s[8:9], s[0:1]
	s_cbranch_execz .LBB15_619
.LBB15_618:
	v_lshlrev_b32_e32 v3, 24, v4
	v_and_b32_e32 v4, 0xffff, v4
	v_and_b32_e32 v5, 3, v4
	v_ffbh_u32_e32 v7, v5
	v_min_u32_e32 v7, 32, v7
	v_subrev_u32_e32 v9, 29, v7
	v_bfe_u32 v6, v4, 2, 5
	v_lshlrev_b32_e32 v4, v9, v4
	v_sub_u32_e32 v7, 30, v7
	v_and_b32_e32 v4, 3, v4
	v_cmp_eq_u32_e32 vcc, 0, v6
	v_cndmask_b32_e32 v6, v6, v7, vcc
	v_cndmask_b32_e32 v4, v5, v4, vcc
	v_mov_b32_e32 v5, 0x37800000
	v_lshlrev_b32_e32 v4, 21, v4
	v_and_b32_e32 v3, 0x80000000, v3
	v_lshl_add_u32 v5, v6, 23, v5
	v_or3_b32 v3, v3, v5, v4
.LBB15_619:
	s_or_b64 exec, exec, s[8:9]
	s_mov_b64 s[0:1], 0
	s_branch .LBB15_625
.LBB15_620:
	s_mov_b64 s[8:9], -1
                                        ; implicit-def: $vgpr3
	s_branch .LBB15_631
.LBB15_621:
	s_or_saveexec_b64 s[8:9], s[8:9]
	v_mov_b32_e32 v3, 0x7f800001
	s_xor_b64 exec, exec, s[8:9]
	s_cbranch_execz .LBB15_604
.LBB15_622:
	v_cmp_ne_u16_e32 vcc, 0, v4
	s_andn2_b64 s[0:1], s[0:1], exec
	s_and_b64 s[10:11], vcc, exec
	v_mov_b32_e32 v3, 0
	s_or_b64 s[0:1], s[0:1], s[10:11]
	s_or_b64 exec, exec, s[8:9]
	s_and_saveexec_b64 s[8:9], s[0:1]
	s_cbranch_execnz .LBB15_605
	s_branch .LBB15_606
.LBB15_623:
	s_mov_b64 s[0:1], -1
                                        ; implicit-def: $vgpr3
	s_branch .LBB15_628
.LBB15_624:
	s_mov_b64 s[0:1], -1
                                        ; implicit-def: $vgpr3
.LBB15_625:
	s_and_b64 vcc, exec, s[0:1]
	s_cbranch_vccz .LBB15_627
; %bb.626:
	global_load_ubyte v3, v[1:2], off
	s_mov_b32 s0, 0x7f800000
	s_waitcnt vmcnt(0)
	v_lshlrev_b32_e32 v3, 24, v3
	v_and_b32_e32 v4, 0x7f000000, v3
	v_ffbh_u32_e32 v5, v4
	v_min_u32_e32 v5, 32, v5
	v_sub_u32_e64 v5, v5, 4 clamp
	v_lshlrev_b32_e32 v7, v5, v4
	v_lshlrev_b32_e32 v5, 23, v5
	v_lshrrev_b32_e32 v7, 4, v7
	v_add_u32_e32 v6, 0x1000000, v4
	v_sub_u32_e32 v5, v7, v5
	v_ashrrev_i32_e32 v6, 8, v6
	v_add_u32_e32 v5, 0x3c000000, v5
	v_and_or_b32 v5, v6, s0, v5
	v_cmp_ne_u32_e32 vcc, 0, v4
	v_cndmask_b32_e32 v4, 0, v5, vcc
	s_brev_b32 s0, 1
	v_and_or_b32 v3, v3, s0, v4
.LBB15_627:
	s_mov_b64 s[0:1], 0
.LBB15_628:
	s_andn2_b64 vcc, exec, s[0:1]
	s_cbranch_vccnz .LBB15_630
; %bb.629:
	global_load_ubyte v3, v[1:2], off
	s_movk_i32 s0, 0x7f00
	s_brev_b32 s1, 16
	s_waitcnt vmcnt(0)
	v_lshlrev_b16_e32 v4, 8, v3
	v_lshlrev_b32_e32 v3, 25, v3
	v_lshrrev_b32_e32 v5, 4, v3
	v_and_or_b32 v6, v4, s0, 0.5
	v_or_b32_e32 v5, 0x70000000, v5
	v_add_f32_e32 v6, -0.5, v6
	v_mul_f32_e32 v5, 0x7800000, v5
	v_cmp_gt_u32_e32 vcc, s1, v3
	v_bfe_i32 v4, v4, 0, 16
	v_cndmask_b32_e32 v3, v5, v6, vcc
	s_brev_b32 s0, 1
	v_and_or_b32 v3, v4, s0, v3
.LBB15_630:
	s_mov_b64 s[8:9], 0
	s_mov_b64 s[0:1], -1
.LBB15_631:
	s_andn2_b64 vcc, exec, s[8:9]
	s_cbranch_vccnz .LBB15_644
; %bb.632:
	s_cmp_gt_i32 s12, 14
	s_cbranch_scc0 .LBB15_635
; %bb.633:
	s_cmp_eq_u32 s12, 15
	s_cbranch_scc0 .LBB15_638
; %bb.634:
	global_load_ushort v3, v[1:2], off
	s_mov_b64 s[0:1], -1
	s_mov_b64 s[2:3], 0
	s_waitcnt vmcnt(0)
	v_lshlrev_b32_e32 v3, 16, v3
	s_branch .LBB15_639
.LBB15_635:
	s_mov_b64 s[8:9], -1
                                        ; implicit-def: $vgpr3
	s_branch .LBB15_640
.LBB15_636:
	s_or_saveexec_b64 s[8:9], s[8:9]
	v_mov_b32_e32 v3, 0x7f800001
	s_xor_b64 exec, exec, s[8:9]
	s_cbranch_execz .LBB15_617
.LBB15_637:
	v_cmp_ne_u16_e32 vcc, 0, v4
	s_andn2_b64 s[0:1], s[0:1], exec
	s_and_b64 s[10:11], vcc, exec
	v_mov_b32_e32 v3, 0
	s_or_b64 s[0:1], s[0:1], s[10:11]
	s_or_b64 exec, exec, s[8:9]
	s_and_saveexec_b64 s[8:9], s[0:1]
	s_cbranch_execnz .LBB15_618
	s_branch .LBB15_619
.LBB15_638:
	s_mov_b64 s[2:3], -1
                                        ; implicit-def: $vgpr3
.LBB15_639:
	s_mov_b64 s[8:9], 0
.LBB15_640:
	s_and_b64 vcc, exec, s[8:9]
	s_cbranch_vccz .LBB15_644
; %bb.641:
	s_cmp_eq_u32 s12, 11
	s_cbranch_scc0 .LBB15_643
; %bb.642:
	global_load_ubyte v3, v[1:2], off
	s_mov_b64 s[0:1], -1
	s_mov_b64 s[2:3], 0
	s_waitcnt vmcnt(0)
	v_cmp_ne_u16_e32 vcc, 0, v3
	v_cndmask_b32_e64 v3, 0, 1.0, vcc
	s_branch .LBB15_644
.LBB15_643:
	s_mov_b64 s[2:3], -1
                                        ; implicit-def: $vgpr3
.LBB15_644:
	s_mov_b64 s[8:9], 0
.LBB15_645:
	s_and_b64 vcc, exec, s[8:9]
	s_cbranch_vccz .LBB15_694
; %bb.646:
	s_cmp_lt_i32 s12, 5
	s_cbranch_scc1 .LBB15_651
; %bb.647:
	s_cmp_lt_i32 s12, 8
	s_cbranch_scc1 .LBB15_652
	;; [unrolled: 3-line block ×3, first 2 shown]
; %bb.649:
	s_cmp_gt_i32 s12, 9
	s_cbranch_scc0 .LBB15_654
; %bb.650:
	global_load_dwordx2 v[3:4], v[1:2], off
	s_mov_b64 s[0:1], 0
	s_waitcnt vmcnt(0)
	v_cvt_f32_f64_e32 v3, v[3:4]
	s_branch .LBB15_655
.LBB15_651:
	s_mov_b64 s[0:1], -1
                                        ; implicit-def: $vgpr3
	s_branch .LBB15_673
.LBB15_652:
	s_mov_b64 s[0:1], -1
                                        ; implicit-def: $vgpr3
	s_branch .LBB15_661
.LBB15_653:
	s_mov_b64 s[0:1], -1
                                        ; implicit-def: $vgpr3
	s_branch .LBB15_658
.LBB15_654:
	s_mov_b64 s[0:1], -1
                                        ; implicit-def: $vgpr3
.LBB15_655:
	s_andn2_b64 vcc, exec, s[0:1]
	s_cbranch_vccnz .LBB15_657
; %bb.656:
	global_load_dword v3, v[1:2], off
.LBB15_657:
	s_mov_b64 s[0:1], 0
.LBB15_658:
	s_andn2_b64 vcc, exec, s[0:1]
	s_cbranch_vccnz .LBB15_660
; %bb.659:
	global_load_dword v3, v[1:2], off
	s_waitcnt vmcnt(0)
	v_cvt_f32_f16_e32 v3, v3
.LBB15_660:
	s_mov_b64 s[0:1], 0
.LBB15_661:
	s_andn2_b64 vcc, exec, s[0:1]
	s_cbranch_vccnz .LBB15_672
; %bb.662:
	s_cmp_lt_i32 s12, 6
	s_cbranch_scc1 .LBB15_665
; %bb.663:
	s_cmp_gt_i32 s12, 6
	s_cbranch_scc0 .LBB15_666
; %bb.664:
	global_load_dwordx2 v[3:4], v[1:2], off
	s_mov_b64 s[0:1], 0
	s_waitcnt vmcnt(0)
	v_cvt_f32_f64_e32 v3, v[3:4]
	s_branch .LBB15_667
.LBB15_665:
	s_mov_b64 s[0:1], -1
                                        ; implicit-def: $vgpr3
	s_branch .LBB15_670
.LBB15_666:
	s_mov_b64 s[0:1], -1
                                        ; implicit-def: $vgpr3
.LBB15_667:
	s_andn2_b64 vcc, exec, s[0:1]
	s_cbranch_vccnz .LBB15_669
; %bb.668:
	global_load_dword v3, v[1:2], off
.LBB15_669:
	s_mov_b64 s[0:1], 0
.LBB15_670:
	s_andn2_b64 vcc, exec, s[0:1]
	s_cbranch_vccnz .LBB15_672
; %bb.671:
	global_load_ushort v3, v[1:2], off
	s_waitcnt vmcnt(0)
	v_cvt_f32_f16_e32 v3, v3
.LBB15_672:
	s_mov_b64 s[0:1], 0
.LBB15_673:
	s_andn2_b64 vcc, exec, s[0:1]
	s_cbranch_vccnz .LBB15_693
; %bb.674:
	s_cmp_lt_i32 s12, 2
	s_cbranch_scc1 .LBB15_678
; %bb.675:
	s_cmp_lt_i32 s12, 3
	s_cbranch_scc1 .LBB15_679
; %bb.676:
	s_cmp_gt_i32 s12, 3
	s_cbranch_scc0 .LBB15_680
; %bb.677:
	global_load_dwordx2 v[3:4], v[1:2], off
	s_mov_b64 s[0:1], 0
	s_waitcnt vmcnt(0)
	v_xor_b32_e32 v6, v3, v4
	v_ffbh_i32_e32 v5, v4
	v_ashrrev_i32_e32 v6, 31, v6
	v_add_u32_e32 v5, -1, v5
	v_add_u32_e32 v6, 32, v6
	v_min_u32_e32 v5, v5, v6
	v_lshlrev_b64 v[3:4], v5, v[3:4]
	v_min_u32_e32 v3, 1, v3
	v_or_b32_e32 v3, v4, v3
	v_cvt_f32_i32_e32 v3, v3
	v_sub_u32_e32 v4, 32, v5
	v_ldexp_f32 v3, v3, v4
	s_branch .LBB15_681
.LBB15_678:
	s_mov_b64 s[0:1], -1
                                        ; implicit-def: $vgpr3
	s_branch .LBB15_687
.LBB15_679:
	s_mov_b64 s[0:1], -1
                                        ; implicit-def: $vgpr3
	s_branch .LBB15_684
.LBB15_680:
	s_mov_b64 s[0:1], -1
                                        ; implicit-def: $vgpr3
.LBB15_681:
	s_andn2_b64 vcc, exec, s[0:1]
	s_cbranch_vccnz .LBB15_683
; %bb.682:
	global_load_dword v3, v[1:2], off
	s_waitcnt vmcnt(0)
	v_cvt_f32_i32_e32 v3, v3
.LBB15_683:
	s_mov_b64 s[0:1], 0
.LBB15_684:
	s_andn2_b64 vcc, exec, s[0:1]
	s_cbranch_vccnz .LBB15_686
; %bb.685:
	global_load_sshort v3, v[1:2], off
	s_waitcnt vmcnt(0)
	v_cvt_f32_i32_e32 v3, v3
.LBB15_686:
	s_mov_b64 s[0:1], 0
.LBB15_687:
	s_andn2_b64 vcc, exec, s[0:1]
	s_cbranch_vccnz .LBB15_693
; %bb.688:
	s_cmp_gt_i32 s12, 0
	s_cbranch_scc0 .LBB15_690
; %bb.689:
	global_load_sbyte v3, v[1:2], off
	s_mov_b64 s[0:1], 0
	s_waitcnt vmcnt(0)
	v_cvt_f32_i32_e32 v3, v3
	s_branch .LBB15_691
.LBB15_690:
	s_mov_b64 s[0:1], -1
                                        ; implicit-def: $vgpr3
.LBB15_691:
	s_andn2_b64 vcc, exec, s[0:1]
	s_cbranch_vccnz .LBB15_693
; %bb.692:
	global_load_ubyte v1, v[1:2], off
	s_waitcnt vmcnt(0)
	v_cvt_f32_ubyte0_e32 v3, v1
.LBB15_693:
	s_mov_b64 s[0:1], -1
.LBB15_694:
	s_andn2_b64 vcc, exec, s[0:1]
	s_cbranch_vccnz .LBB15_704
; %bb.695:
	s_waitcnt vmcnt(0)
	v_cmp_lt_f32_e32 vcc, s44, v3
	v_mov_b32_e32 v1, 1.0
	s_and_saveexec_b64 s[0:1], vcc
	s_cbranch_execz .LBB15_697
; %bb.696:
	v_add_f32_e32 v1, 0x33d6bf95, v3
	v_div_scale_f32 v2, s[8:9], v1, v1, s44
	v_div_scale_f32 v3, vcc, s44, v1, s44
	v_rcp_f32_e32 v4, v2
	v_fma_f32 v5, -v2, v4, 1.0
	v_fmac_f32_e32 v4, v5, v4
	v_mul_f32_e32 v5, v3, v4
	v_fma_f32 v6, -v2, v5, v3
	v_fmac_f32_e32 v5, v6, v4
	v_fma_f32 v2, -v2, v5, v3
	v_div_fmas_f32 v2, v2, v4, v5
	v_div_fixup_f32 v1, v2, v1, s44
.LBB15_697:
	s_or_b64 exec, exec, s[0:1]
	v_mov_b32_e32 v2, s25
	s_and_b32 s14, s45, 0xff
	v_add_co_u32_e32 v3, vcc, s24, v0
	s_cmp_lt_i32 s14, 11
	v_addc_co_u32_e32 v4, vcc, 0, v2, vcc
	s_cbranch_scc1 .LBB15_705
; %bb.698:
	s_and_b32 s15, 0xffff, s14
	s_cmp_gt_i32 s15, 25
	s_cbranch_scc0 .LBB15_706
; %bb.699:
	s_cmp_gt_i32 s15, 28
	s_cbranch_scc0 .LBB15_707
; %bb.700:
	;; [unrolled: 3-line block ×4, first 2 shown]
	s_mov_b64 s[10:11], 0
	s_mov_b64 s[0:1], -1
	s_cmp_eq_u32 s15, 46
	s_mov_b64 s[8:9], 0
	s_cbranch_scc0 .LBB15_710
; %bb.703:
	v_bfe_u32 v0, v1, 16, 1
	s_movk_i32 s0, 0x7fff
	v_add3_u32 v0, v1, v0, s0
	v_cmp_o_f32_e32 vcc, v1, v1
	v_mov_b32_e32 v2, 0x7fc0
	v_cndmask_b32_sdwa v0, v2, v0, vcc dst_sel:DWORD dst_unused:UNUSED_PAD src0_sel:DWORD src1_sel:WORD_1
	global_store_dword v[3:4], v0, off
	s_mov_b64 s[8:9], -1
	s_mov_b64 s[0:1], 0
	s_branch .LBB15_710
.LBB15_704:
	s_mov_b64 s[8:9], 0
	s_mov_b64 s[0:1], s[62:63]
	s_branch .LBB15_821
.LBB15_705:
	s_mov_b64 s[10:11], -1
	s_mov_b64 s[8:9], 0
	s_mov_b64 s[0:1], s[62:63]
	s_branch .LBB15_779
.LBB15_706:
	s_mov_b64 s[10:11], -1
	s_mov_b64 s[8:9], 0
	s_mov_b64 s[0:1], s[62:63]
	s_branch .LBB15_737
.LBB15_707:
	s_mov_b64 s[10:11], -1
	s_mov_b64 s[8:9], 0
	s_mov_b64 s[0:1], s[62:63]
	s_branch .LBB15_720
.LBB15_708:
	s_mov_b64 s[10:11], -1
	s_mov_b64 s[8:9], 0
	s_mov_b64 s[0:1], s[62:63]
	s_branch .LBB15_716
.LBB15_709:
	s_mov_b64 s[10:11], -1
	s_mov_b64 s[8:9], 0
	s_mov_b64 s[0:1], s[62:63]
.LBB15_710:
	s_and_b64 vcc, exec, s[10:11]
	s_cbranch_vccz .LBB15_715
; %bb.711:
	s_cmp_eq_u32 s15, 44
	s_mov_b64 s[0:1], -1
	s_cbranch_scc0 .LBB15_715
; %bb.712:
	v_bfe_u32 v0, v1, 23, 8
	s_movk_i32 s0, 0xff
	v_cmp_ne_u32_e32 vcc, s0, v0
	v_mov_b32_e32 v2, 0xff
	s_and_saveexec_b64 s[8:9], vcc
; %bb.713:
	s_mov_b32 s0, 0x3fffff
	v_and_b32_e32 v5, 0x400000, v1
	v_and_or_b32 v0, v1, s0, v0
	v_cmp_ne_u32_e32 vcc, 0, v5
	v_cmp_ne_u32_e64 s[0:1], 0, v0
	s_and_b64 s[0:1], vcc, s[0:1]
	v_lshrrev_b32_e32 v2, 23, v1
	v_cndmask_b32_e64 v0, 0, 1, s[0:1]
	v_add_u32_e32 v2, v2, v0
; %bb.714:
	s_or_b64 exec, exec, s[8:9]
	s_mov_b64 s[8:9], -1
	s_mov_b64 s[0:1], 0
	global_store_byte v[3:4], v2, off
.LBB15_715:
	s_mov_b64 s[10:11], 0
.LBB15_716:
	s_and_b64 vcc, exec, s[10:11]
	s_cbranch_vccz .LBB15_719
; %bb.717:
	s_cmp_eq_u32 s15, 29
	s_mov_b64 s[0:1], -1
	s_cbranch_scc0 .LBB15_719
; %bb.718:
	v_trunc_f32_e32 v0, v1
	v_mul_f32_e32 v2, 0x2f800000, v0
	v_floor_f32_e32 v2, v2
	v_fmac_f32_e32 v0, 0xcf800000, v2
	v_cvt_u32_f32_e32 v6, v2
	v_cvt_u32_f32_e32 v5, v0
	s_mov_b64 s[8:9], -1
	s_mov_b64 s[0:1], 0
	s_mov_b64 s[10:11], 0
	global_store_dwordx2 v[3:4], v[5:6], off
	s_branch .LBB15_720
.LBB15_719:
	s_mov_b64 s[10:11], 0
.LBB15_720:
	s_and_b64 vcc, exec, s[10:11]
	s_cbranch_vccz .LBB15_736
; %bb.721:
	s_cmp_lt_i32 s15, 27
	s_mov_b64 s[8:9], -1
	s_cbranch_scc1 .LBB15_727
; %bb.722:
	v_cvt_u32_f32_e32 v0, v1
	s_cmp_gt_i32 s15, 27
	s_cbranch_scc0 .LBB15_724
; %bb.723:
	s_mov_b64 s[8:9], 0
	global_store_dword v[3:4], v0, off
.LBB15_724:
	s_andn2_b64 vcc, exec, s[8:9]
	s_cbranch_vccnz .LBB15_726
; %bb.725:
	global_store_short v[3:4], v0, off
.LBB15_726:
	s_mov_b64 s[8:9], 0
.LBB15_727:
	s_andn2_b64 vcc, exec, s[8:9]
	s_cbranch_vccnz .LBB15_735
; %bb.728:
	v_and_b32_e32 v0, 0x7fffffff, v1
	s_mov_b32 s8, 0x43800000
	v_cmp_gt_u32_e32 vcc, s8, v0
	v_mov_b32_e32 v2, 0x80
	s_and_saveexec_b64 s[8:9], vcc
	s_cbranch_execz .LBB15_734
; %bb.729:
	s_mov_b32 s10, 0x3bffffff
	v_cmp_lt_u32_e32 vcc, s10, v0
	s_mov_b64 s[10:11], 0
                                        ; implicit-def: $vgpr0
	s_and_saveexec_b64 s[12:13], vcc
	s_xor_b64 s[12:13], exec, s[12:13]
	s_cbranch_execz .LBB15_851
; %bb.730:
	v_bfe_u32 v0, v1, 20, 1
	s_mov_b32 s16, 0x487ffff
	v_add3_u32 v0, v1, v0, s16
	s_mov_b64 s[10:11], exec
	v_lshrrev_b32_e32 v0, 20, v0
	s_andn2_saveexec_b64 s[12:13], s[12:13]
	s_cbranch_execnz .LBB15_852
.LBB15_731:
	s_or_b64 exec, exec, s[12:13]
	v_mov_b32_e32 v2, 0
	s_and_saveexec_b64 s[12:13], s[10:11]
.LBB15_732:
	v_lshrrev_b32_e32 v2, 24, v1
	s_movk_i32 s10, 0x80
	v_and_or_b32 v2, v2, s10, v0
.LBB15_733:
	s_or_b64 exec, exec, s[12:13]
.LBB15_734:
	s_or_b64 exec, exec, s[8:9]
	global_store_byte v[3:4], v2, off
.LBB15_735:
	s_mov_b64 s[8:9], -1
.LBB15_736:
	s_mov_b64 s[10:11], 0
.LBB15_737:
	s_and_b64 vcc, exec, s[10:11]
	s_cbranch_vccz .LBB15_778
; %bb.738:
	s_cmp_gt_i32 s15, 22
	s_mov_b64 s[10:11], -1
	s_cbranch_scc0 .LBB15_770
; %bb.739:
	s_cmp_lt_i32 s15, 24
	s_mov_b64 s[8:9], -1
	s_cbranch_scc1 .LBB15_759
; %bb.740:
	s_cmp_gt_i32 s15, 24
	s_cbranch_scc0 .LBB15_748
; %bb.741:
	v_and_b32_e32 v0, 0x7fffffff, v1
	s_mov_b32 s8, 0x47800000
	v_cmp_gt_u32_e32 vcc, s8, v0
	v_mov_b32_e32 v2, 0x80
	s_and_saveexec_b64 s[8:9], vcc
	s_cbranch_execz .LBB15_747
; %bb.742:
	s_mov_b32 s10, 0x37ffffff
	v_cmp_lt_u32_e32 vcc, s10, v0
	s_mov_b64 s[10:11], 0
                                        ; implicit-def: $vgpr0
	s_and_saveexec_b64 s[12:13], vcc
	s_xor_b64 s[12:13], exec, s[12:13]
	s_cbranch_execz .LBB15_854
; %bb.743:
	v_bfe_u32 v0, v1, 21, 1
	s_mov_b32 s16, 0x88fffff
	v_add3_u32 v0, v1, v0, s16
	s_mov_b64 s[10:11], exec
	v_lshrrev_b32_e32 v0, 21, v0
	s_andn2_saveexec_b64 s[12:13], s[12:13]
	s_cbranch_execnz .LBB15_855
.LBB15_744:
	s_or_b64 exec, exec, s[12:13]
	v_mov_b32_e32 v2, 0
	s_and_saveexec_b64 s[12:13], s[10:11]
.LBB15_745:
	v_lshrrev_b32_e32 v2, 24, v1
	s_movk_i32 s10, 0x80
	v_and_or_b32 v2, v2, s10, v0
.LBB15_746:
	s_or_b64 exec, exec, s[12:13]
.LBB15_747:
	s_or_b64 exec, exec, s[8:9]
	s_mov_b64 s[8:9], 0
	global_store_byte v[3:4], v2, off
.LBB15_748:
	s_and_b64 vcc, exec, s[8:9]
	s_cbranch_vccz .LBB15_758
; %bb.749:
	v_and_b32_e32 v2, 0x7fffffff, v1
	s_mov_b32 s8, 0x43f00000
	v_cmp_gt_u32_e32 vcc, s8, v2
                                        ; implicit-def: $vgpr0
	s_and_saveexec_b64 s[8:9], vcc
	s_xor_b64 s[8:9], exec, s[8:9]
	s_cbranch_execz .LBB15_755
; %bb.750:
	s_mov_b32 s10, 0x3c7fffff
	v_cmp_lt_u32_e32 vcc, s10, v2
                                        ; implicit-def: $vgpr0
	s_and_saveexec_b64 s[10:11], vcc
	s_xor_b64 s[10:11], exec, s[10:11]
; %bb.751:
	v_bfe_u32 v0, v1, 20, 1
	s_mov_b32 s12, 0x407ffff
	v_add3_u32 v0, v1, v0, s12
	v_lshrrev_b32_e32 v2, 20, v0
	v_and_b32_e32 v0, 0xff00000, v0
	s_mov_b32 s12, 0x7f00000
	v_mov_b32_e32 v5, 0x7e
	v_cmp_ne_u32_e32 vcc, s12, v0
	v_cndmask_b32_e32 v0, v5, v2, vcc
; %bb.752:
	s_andn2_saveexec_b64 s[10:11], s[10:11]
; %bb.753:
	s_mov_b32 s12, 0x46800000
	v_add_f32_e64 v0, |v1|, s12
; %bb.754:
	s_or_b64 exec, exec, s[10:11]
                                        ; implicit-def: $vgpr2
.LBB15_755:
	s_andn2_saveexec_b64 s[8:9], s[8:9]
; %bb.756:
	s_mov_b32 s10, 0x7f800000
	v_mov_b32_e32 v0, 0x7e
	v_mov_b32_e32 v5, 0x7f
	v_cmp_lt_u32_e32 vcc, s10, v2
	v_cndmask_b32_e32 v0, v0, v5, vcc
; %bb.757:
	s_or_b64 exec, exec, s[8:9]
	v_lshrrev_b32_e32 v2, 24, v1
	s_movk_i32 s8, 0x80
	v_and_or_b32 v0, v2, s8, v0
	global_store_byte v[3:4], v0, off
.LBB15_758:
	s_mov_b64 s[8:9], 0
.LBB15_759:
	s_andn2_b64 vcc, exec, s[8:9]
	s_cbranch_vccnz .LBB15_769
; %bb.760:
	v_and_b32_e32 v2, 0x7fffffff, v1
	s_mov_b32 s8, 0x47800000
	v_cmp_gt_u32_e32 vcc, s8, v2
                                        ; implicit-def: $vgpr0
	s_and_saveexec_b64 s[8:9], vcc
	s_xor_b64 s[8:9], exec, s[8:9]
	s_cbranch_execz .LBB15_766
; %bb.761:
	s_mov_b32 s10, 0x387fffff
	v_cmp_lt_u32_e32 vcc, s10, v2
                                        ; implicit-def: $vgpr0
	s_and_saveexec_b64 s[10:11], vcc
	s_xor_b64 s[10:11], exec, s[10:11]
; %bb.762:
	v_bfe_u32 v0, v1, 21, 1
	s_mov_b32 s12, 0x80fffff
	v_add3_u32 v0, v1, v0, s12
	v_lshrrev_b32_e32 v0, 21, v0
; %bb.763:
	s_andn2_saveexec_b64 s[10:11], s[10:11]
; %bb.764:
	s_mov_b32 s12, 0x43000000
	v_add_f32_e64 v0, |v1|, s12
; %bb.765:
	s_or_b64 exec, exec, s[10:11]
                                        ; implicit-def: $vgpr2
.LBB15_766:
	s_andn2_saveexec_b64 s[8:9], s[8:9]
; %bb.767:
	s_mov_b32 s10, 0x7f800000
	v_mov_b32_e32 v0, 0x7c
	v_mov_b32_e32 v5, 0x7f
	v_cmp_lt_u32_e32 vcc, s10, v2
	v_cndmask_b32_e32 v0, v0, v5, vcc
; %bb.768:
	s_or_b64 exec, exec, s[8:9]
	v_lshrrev_b32_e32 v2, 24, v1
	s_movk_i32 s8, 0x80
	v_and_or_b32 v0, v2, s8, v0
	global_store_byte v[3:4], v0, off
.LBB15_769:
	s_mov_b64 s[10:11], 0
	s_mov_b64 s[8:9], -1
.LBB15_770:
	s_andn2_b64 vcc, exec, s[10:11]
	s_cbranch_vccnz .LBB15_778
; %bb.771:
	s_cmp_gt_i32 s15, 14
	s_mov_b64 s[10:11], -1
	s_cbranch_scc0 .LBB15_775
; %bb.772:
	s_cmp_eq_u32 s15, 15
	s_mov_b64 s[0:1], -1
	s_cbranch_scc0 .LBB15_774
; %bb.773:
	v_bfe_u32 v0, v1, 16, 1
	s_movk_i32 s0, 0x7fff
	v_add3_u32 v0, v1, v0, s0
	v_cmp_o_f32_e32 vcc, v1, v1
	v_mov_b32_e32 v2, 0x7fc0
	v_cndmask_b32_sdwa v0, v2, v0, vcc dst_sel:DWORD dst_unused:UNUSED_PAD src0_sel:DWORD src1_sel:WORD_1
	global_store_short v[3:4], v0, off
	s_mov_b64 s[8:9], -1
	s_mov_b64 s[0:1], 0
.LBB15_774:
	s_mov_b64 s[10:11], 0
.LBB15_775:
	s_and_b64 vcc, exec, s[10:11]
	s_cbranch_vccz .LBB15_778
; %bb.776:
	s_cmp_eq_u32 s15, 11
	s_mov_b64 s[0:1], -1
	s_cbranch_scc0 .LBB15_778
; %bb.777:
	v_cmp_neq_f32_e32 vcc, 0, v1
	v_cndmask_b32_e64 v0, 0, 1, vcc
	s_mov_b64 s[8:9], -1
	s_mov_b64 s[0:1], 0
	global_store_byte v[3:4], v0, off
.LBB15_778:
	s_mov_b64 s[10:11], 0
.LBB15_779:
	s_and_b64 vcc, exec, s[10:11]
	s_cbranch_vccz .LBB15_818
; %bb.780:
	s_and_b32 s10, 0xffff, s14
	s_cmp_lt_i32 s10, 5
	s_mov_b64 s[8:9], -1
	s_cbranch_scc1 .LBB15_801
; %bb.781:
	s_cmp_lt_i32 s10, 8
	s_cbranch_scc1 .LBB15_791
; %bb.782:
	s_cmp_lt_i32 s10, 9
	s_cbranch_scc1 .LBB15_788
; %bb.783:
	s_cmp_gt_i32 s10, 9
	s_cbranch_scc0 .LBB15_785
; %bb.784:
	v_cvt_f64_f32_e32 v[9:10], v1
	v_mov_b32_e32 v11, 0
	v_mov_b32_e32 v12, v11
	s_mov_b64 s[8:9], 0
	global_store_dwordx4 v[3:4], v[9:12], off
.LBB15_785:
	s_andn2_b64 vcc, exec, s[8:9]
	s_cbranch_vccnz .LBB15_787
; %bb.786:
	v_mov_b32_e32 v2, 0
	global_store_dwordx2 v[3:4], v[1:2], off
.LBB15_787:
	s_mov_b64 s[8:9], 0
.LBB15_788:
	s_andn2_b64 vcc, exec, s[8:9]
	s_cbranch_vccnz .LBB15_790
; %bb.789:
	v_cvt_f16_f32_e32 v0, v1
	global_store_dword v[3:4], v0, off
.LBB15_790:
	s_mov_b64 s[8:9], 0
.LBB15_791:
	s_andn2_b64 vcc, exec, s[8:9]
	s_cbranch_vccnz .LBB15_800
; %bb.792:
	s_cmp_lt_i32 s10, 6
	s_mov_b64 s[8:9], -1
	s_cbranch_scc1 .LBB15_798
; %bb.793:
	s_cmp_gt_i32 s10, 6
	s_cbranch_scc0 .LBB15_795
; %bb.794:
	v_cvt_f64_f32_e32 v[5:6], v1
	s_mov_b64 s[8:9], 0
	global_store_dwordx2 v[3:4], v[5:6], off
.LBB15_795:
	s_andn2_b64 vcc, exec, s[8:9]
	s_cbranch_vccnz .LBB15_797
; %bb.796:
	global_store_dword v[3:4], v1, off
.LBB15_797:
	s_mov_b64 s[8:9], 0
.LBB15_798:
	s_andn2_b64 vcc, exec, s[8:9]
	s_cbranch_vccnz .LBB15_800
; %bb.799:
	v_cvt_f16_f32_e32 v0, v1
	global_store_short v[3:4], v0, off
.LBB15_800:
	s_mov_b64 s[8:9], 0
.LBB15_801:
	s_andn2_b64 vcc, exec, s[8:9]
	s_cbranch_vccnz .LBB15_817
; %bb.802:
	s_cmp_lt_i32 s10, 2
	s_mov_b64 s[8:9], -1
	s_cbranch_scc1 .LBB15_812
; %bb.803:
	s_cmp_lt_i32 s10, 3
	s_cbranch_scc1 .LBB15_809
; %bb.804:
	s_cmp_gt_i32 s10, 3
	s_cbranch_scc0 .LBB15_806
; %bb.805:
	v_trunc_f32_e32 v0, v1
	s_mov_b32 s8, 0x2f800000
	v_mul_f32_e64 v2, |v0|, s8
	v_floor_f32_e32 v2, v2
	s_mov_b32 s8, 0xcf800000
	v_cvt_u32_f32_e32 v5, v2
	v_fma_f32 v2, v2, s8, |v0|
	v_cvt_u32_f32_e32 v2, v2
	v_ashrrev_i32_e32 v0, 31, v0
	v_xor_b32_e32 v6, v5, v0
	s_mov_b64 s[8:9], 0
	v_xor_b32_e32 v2, v2, v0
	v_sub_co_u32_e32 v5, vcc, v2, v0
	v_subb_co_u32_e32 v6, vcc, v6, v0, vcc
	global_store_dwordx2 v[3:4], v[5:6], off
.LBB15_806:
	s_andn2_b64 vcc, exec, s[8:9]
	s_cbranch_vccnz .LBB15_808
; %bb.807:
	v_cvt_i32_f32_e32 v0, v1
	global_store_dword v[3:4], v0, off
.LBB15_808:
	s_mov_b64 s[8:9], 0
.LBB15_809:
	s_andn2_b64 vcc, exec, s[8:9]
	s_cbranch_vccnz .LBB15_811
; %bb.810:
	v_cvt_i32_f32_e32 v0, v1
	global_store_short v[3:4], v0, off
.LBB15_811:
	s_mov_b64 s[8:9], 0
.LBB15_812:
	s_andn2_b64 vcc, exec, s[8:9]
	s_cbranch_vccnz .LBB15_817
; %bb.813:
	s_cmp_gt_i32 s10, 0
	s_mov_b64 s[8:9], -1
	s_cbranch_scc0 .LBB15_815
; %bb.814:
	v_cvt_i32_f32_e32 v0, v1
	s_mov_b64 s[8:9], 0
	global_store_byte v[3:4], v0, off
.LBB15_815:
	s_andn2_b64 vcc, exec, s[8:9]
	s_cbranch_vccnz .LBB15_817
; %bb.816:
	v_trunc_f32_e32 v0, v1
	s_mov_b32 s8, 0x2f800000
	v_mul_f32_e64 v1, |v0|, s8
	v_floor_f32_e32 v1, v1
	s_mov_b32 s8, 0xcf800000
	v_fma_f32 v1, v1, s8, |v0|
	v_cvt_u32_f32_e32 v1, v1
	v_ashrrev_i32_e32 v0, 31, v0
	v_xor_b32_e32 v1, v1, v0
	v_sub_u32_e32 v0, v1, v0
	global_store_byte v[3:4], v0, off
.LBB15_817:
	s_mov_b64 s[8:9], -1
.LBB15_818:
	s_andn2_b64 vcc, exec, s[8:9]
	s_cbranch_vccnz .LBB15_820
; %bb.819:
	v_add_u32_e32 v8, 0x80, v8
	s_mov_b64 s[8:9], -1
	s_branch .LBB15_822
.LBB15_820:
	s_mov_b64 s[8:9], 0
.LBB15_821:
                                        ; implicit-def: $vgpr8
.LBB15_822:
	s_andn2_b64 s[10:11], s[62:63], exec
	s_and_b64 s[0:1], s[0:1], exec
	s_or_b64 s[70:71], s[10:11], s[0:1]
	s_andn2_b64 s[0:1], s[60:61], exec
	s_and_b64 s[2:3], s[2:3], exec
	s_or_b64 s[68:69], s[0:1], s[2:3]
	s_orn2_b64 s[2:3], s[8:9], exec
.LBB15_823:
	s_or_b64 exec, exec, s[66:67]
	s_mov_b64 s[0:1], 0
	s_mov_b64 s[8:9], 0
	;; [unrolled: 1-line block ×3, first 2 shown]
                                        ; implicit-def: $vgpr1_vgpr2
                                        ; implicit-def: $vgpr0
                                        ; implicit-def: $vgpr5
	s_and_saveexec_b64 s[66:67], s[2:3]
	s_cbranch_execz .LBB15_922
; %bb.824:
	v_cmp_gt_i32_e32 vcc, s72, v8
	s_mov_b64 s[2:3], 0
	s_mov_b64 s[12:13], s[68:69]
                                        ; implicit-def: $vgpr1_vgpr2
                                        ; implicit-def: $vgpr0
                                        ; implicit-def: $vgpr5
	s_and_saveexec_b64 s[72:73], vcc
	s_cbranch_execz .LBB15_921
; %bb.825:
	s_andn2_b64 vcc, exec, s[40:41]
	s_cbranch_vccnz .LBB15_830
; %bb.826:
	s_andn2_b64 vcc, exec, s[52:53]
	s_cbranch_vccnz .LBB15_831
; %bb.827:
	s_add_i32 s77, s76, 1
	s_cmp_eq_u32 s74, 2
	s_cbranch_scc1 .LBB15_832
; %bb.828:
	s_and_b32 s76, s77, 28
	v_mov_b32_e32 v2, 0
	s_mov_b32 s78, 0
	s_mov_b64 s[52:53], s[34:35]
	v_mov_b32_e32 v0, 0
	v_mov_b32_e32 v1, v8
.LBB15_829:                             ; =>This Inner Loop Header: Depth=1
	s_load_dwordx8 s[16:23], s[52:53], 0x4
	s_load_dwordx4 s[0:3], s[52:53], 0x24
	s_load_dwordx8 s[8:15], s[50:51], 0x0
	s_add_u32 s52, s52, 48
	s_addc_u32 s53, s53, 0
	s_waitcnt vmcnt(0) lgkmcnt(0)
	v_mul_hi_u32 v3, s17, v1
	s_add_i32 s78, s78, 4
	s_add_u32 s50, s50, 32
	s_addc_u32 s51, s51, 0
	v_add_u32_e32 v3, v1, v3
	v_lshrrev_b32_e32 v3, s18, v3
	v_mul_lo_u32 v4, v3, s16
	v_mul_hi_u32 v5, s20, v3
	s_cmp_eq_u32 s76, s78
	v_sub_u32_e32 v1, v1, v4
	v_add_u32_e32 v4, v3, v5
	v_mul_lo_u32 v5, v1, s8
	v_mul_lo_u32 v6, v1, s9
	v_lshrrev_b32_e32 v1, s21, v4
	v_mul_lo_u32 v4, v1, s19
	v_mul_hi_u32 v7, s23, v1
	v_sub_u32_e32 v3, v3, v4
	v_add_u32_e32 v4, v1, v7
	v_lshrrev_b32_e32 v4, s0, v4
	v_mul_hi_u32 v9, s2, v4
	v_mul_lo_u32 v10, v4, s22
	v_mul_lo_u32 v7, v3, s10
	;; [unrolled: 1-line block ×3, first 2 shown]
	v_sub_u32_e32 v10, v1, v10
	v_add_u32_e32 v1, v4, v9
	v_lshrrev_b32_e32 v1, s3, v1
	v_mul_lo_u32 v9, v1, s1
	v_mul_lo_u32 v11, v10, s12
	;; [unrolled: 1-line block ×3, first 2 shown]
	v_add3_u32 v0, v5, v0, v7
	v_sub_u32_e32 v4, v4, v9
	v_mul_lo_u32 v9, v4, s14
	v_mul_lo_u32 v4, v4, s15
	v_add3_u32 v2, v6, v2, v3
	v_add3_u32 v0, v11, v0, v9
	;; [unrolled: 1-line block ×3, first 2 shown]
	s_cbranch_scc0 .LBB15_829
	s_branch .LBB15_833
.LBB15_830:
	s_mov_b64 s[0:1], -1
                                        ; implicit-def: $vgpr0
                                        ; implicit-def: $vgpr2
	s_branch .LBB15_837
.LBB15_831:
	v_mov_b32_e32 v0, 0
	v_mov_b32_e32 v2, 0
	s_branch .LBB15_836
.LBB15_832:
	s_mov_b32 s76, 0
	v_mov_b32_e32 v0, 0
	v_mov_b32_e32 v2, 0
	;; [unrolled: 1-line block ×3, first 2 shown]
.LBB15_833:
	s_and_b32 s8, s77, 3
	s_cmp_eq_u32 s8, 0
	s_cbranch_scc1 .LBB15_836
; %bb.834:
	s_lshl_b32 s0, s76, 3
	s_add_u32 s0, s34, s0
	s_addc_u32 s1, s35, 0
	s_add_u32 s0, s0, 0xc4
	s_addc_u32 s1, s1, 0
	s_mul_i32 s2, s76, 12
	s_add_u32 s2, s34, s2
	s_addc_u32 s3, s35, 0
.LBB15_835:                             ; =>This Inner Loop Header: Depth=1
	s_load_dwordx2 s[10:11], s[2:3], 0x4
	s_load_dword s9, s[2:3], 0xc
	s_load_dwordx2 s[12:13], s[0:1], 0x0
	s_add_u32 s2, s2, 12
	s_addc_u32 s3, s3, 0
	s_waitcnt vmcnt(0) lgkmcnt(0)
	v_mul_hi_u32 v3, s11, v1
	s_add_u32 s0, s0, 8
	s_addc_u32 s1, s1, 0
	s_add_i32 s8, s8, -1
	v_add_u32_e32 v3, v1, v3
	v_lshrrev_b32_e32 v4, s9, v3
	v_mul_lo_u32 v3, v4, s10
	s_cmp_lg_u32 s8, 0
	v_sub_u32_e32 v3, v1, v3
	v_mad_u64_u32 v[0:1], s[10:11], v3, s12, v[0:1]
	v_mad_u64_u32 v[2:3], s[10:11], v3, s13, v[2:3]
	v_mov_b32_e32 v1, v4
	s_cbranch_scc1 .LBB15_835
.LBB15_836:
	s_mov_b64 s[0:1], 0
.LBB15_837:
	s_andn2_b64 vcc, exec, s[0:1]
	s_cbranch_vccnz .LBB15_840
; %bb.838:
	v_mul_hi_u32 v0, s29, v8
	s_andn2_b64 vcc, exec, s[48:49]
	v_add_u32_e32 v0, v8, v0
	v_lshrrev_b32_e32 v1, s30, v0
	v_mul_lo_u32 v0, v1, s28
	v_sub_u32_e32 v2, v8, v0
	v_mul_lo_u32 v0, v2, s36
	v_mul_lo_u32 v2, v2, s37
	s_cbranch_vccnz .LBB15_840
; %bb.839:
	s_waitcnt vmcnt(0)
	v_mul_hi_u32 v3, s46, v1
	v_add_u32_e32 v3, v1, v3
	v_lshrrev_b32_e32 v3, s47, v3
	v_mul_lo_u32 v3, v3, s31
	v_sub_u32_e32 v3, v1, v3
	v_mad_u64_u32 v[0:1], s[0:1], v3, s38, v[0:1]
	v_mad_u64_u32 v[2:3], s[0:1], v3, s39, v[2:3]
.LBB15_840:
	s_waitcnt vmcnt(0)
	v_mov_b32_e32 v3, s27
	s_and_b32 s14, 0xffff, s75
	v_add_co_u32_e32 v1, vcc, s26, v2
	s_cmp_lt_i32 s14, 11
	v_addc_co_u32_e32 v2, vcc, 0, v3, vcc
	s_cbranch_scc1 .LBB15_847
; %bb.841:
	s_cmp_gt_i32 s14, 25
	s_mov_b64 s[2:3], 0
	s_cbranch_scc0 .LBB15_848
; %bb.842:
	s_cmp_gt_i32 s14, 28
	s_cbranch_scc0 .LBB15_849
; %bb.843:
	s_cmp_gt_i32 s14, 43
	;; [unrolled: 3-line block ×3, first 2 shown]
	s_cbranch_scc0 .LBB15_853
; %bb.845:
	s_cmp_eq_u32 s14, 46
	s_mov_b64 s[10:11], 0
	s_cbranch_scc0 .LBB15_856
; %bb.846:
	global_load_dword v3, v[1:2], off
	s_mov_b64 s[0:1], 0
	s_mov_b64 s[8:9], -1
	s_waitcnt vmcnt(0)
	v_lshlrev_b32_e32 v5, 16, v3
	s_branch .LBB15_857
.LBB15_847:
	s_mov_b64 s[12:13], -1
	s_mov_b64 s[8:9], 0
	s_mov_b64 s[2:3], 0
	;; [unrolled: 1-line block ×3, first 2 shown]
                                        ; implicit-def: $vgpr5
	s_branch .LBB15_920
.LBB15_848:
	s_mov_b64 s[10:11], -1
	s_mov_b64 s[8:9], 0
	s_mov_b64 s[0:1], s[68:69]
                                        ; implicit-def: $vgpr5
	s_branch .LBB15_886
.LBB15_849:
	s_mov_b64 s[10:11], -1
	s_mov_b64 s[8:9], 0
	s_mov_b64 s[0:1], s[68:69]
                                        ; implicit-def: $vgpr5
	s_branch .LBB15_867
.LBB15_850:
	s_mov_b64 s[10:11], -1
	s_mov_b64 s[8:9], 0
	s_mov_b64 s[0:1], s[68:69]
                                        ; implicit-def: $vgpr5
	s_branch .LBB15_862
.LBB15_851:
	s_andn2_saveexec_b64 s[12:13], s[12:13]
	s_cbranch_execz .LBB15_731
.LBB15_852:
	s_mov_b32 s16, 0x46000000
	v_add_f32_e64 v0, |v1|, s16
	v_and_b32_e32 v0, 0xff, v0
	v_cmp_ne_u32_e32 vcc, 0, v0
	s_andn2_b64 s[10:11], s[10:11], exec
	s_and_b64 s[16:17], vcc, exec
	s_or_b64 s[10:11], s[10:11], s[16:17]
	s_or_b64 exec, exec, s[12:13]
	v_mov_b32_e32 v2, 0
	s_and_saveexec_b64 s[12:13], s[10:11]
	s_cbranch_execnz .LBB15_732
	s_branch .LBB15_733
.LBB15_853:
	s_mov_b64 s[10:11], -1
	s_mov_b64 s[8:9], 0
	s_mov_b64 s[0:1], s[68:69]
                                        ; implicit-def: $vgpr5
	s_branch .LBB15_857
.LBB15_854:
	s_andn2_saveexec_b64 s[12:13], s[12:13]
	s_cbranch_execz .LBB15_744
.LBB15_855:
	s_mov_b32 s16, 0x42800000
	v_add_f32_e64 v0, |v1|, s16
	v_and_b32_e32 v0, 0xff, v0
	v_cmp_ne_u32_e32 vcc, 0, v0
	s_andn2_b64 s[10:11], s[10:11], exec
	s_and_b64 s[16:17], vcc, exec
	s_or_b64 s[10:11], s[10:11], s[16:17]
	s_or_b64 exec, exec, s[12:13]
	v_mov_b32_e32 v2, 0
	s_and_saveexec_b64 s[12:13], s[10:11]
	s_cbranch_execnz .LBB15_745
	s_branch .LBB15_746
.LBB15_856:
	s_mov_b64 s[0:1], -1
                                        ; implicit-def: $vgpr5
	s_mov_b64 s[8:9], 0
.LBB15_857:
	s_and_b64 vcc, exec, s[10:11]
	s_cbranch_vccz .LBB15_861
; %bb.858:
	s_cmp_eq_u32 s14, 44
	s_cbranch_scc0 .LBB15_860
; %bb.859:
	global_load_ubyte v3, v[1:2], off
	s_movk_i32 s8, 0xff
	v_mov_b32_e32 v4, 0x7f800001
	v_mov_b32_e32 v5, 0x400000
	s_mov_b64 s[0:1], 0
	s_waitcnt vmcnt(0)
	v_lshlrev_b32_e32 v6, 23, v3
	v_cmp_ne_u32_e32 vcc, s8, v3
	v_cndmask_b32_e32 v4, v4, v6, vcc
	v_cmp_ne_u32_e32 vcc, 0, v3
	v_cndmask_b32_e32 v5, v5, v4, vcc
	s_mov_b64 s[8:9], -1
	s_branch .LBB15_861
.LBB15_860:
	s_mov_b64 s[0:1], -1
                                        ; implicit-def: $vgpr5
.LBB15_861:
	s_mov_b64 s[10:11], 0
.LBB15_862:
	s_and_b64 vcc, exec, s[10:11]
	s_cbranch_vccz .LBB15_866
; %bb.863:
	s_cmp_eq_u32 s14, 29
	s_cbranch_scc0 .LBB15_865
; %bb.864:
	global_load_dwordx2 v[3:4], v[1:2], off
	s_mov_b64 s[0:1], 0
	s_mov_b64 s[8:9], -1
	s_mov_b64 s[10:11], 0
	s_waitcnt vmcnt(0)
	v_ffbh_u32_e32 v5, v4
	v_min_u32_e32 v5, 32, v5
	v_lshlrev_b64 v[3:4], v5, v[3:4]
	v_min_u32_e32 v3, 1, v3
	v_or_b32_e32 v3, v4, v3
	v_cvt_f32_u32_e32 v3, v3
	v_sub_u32_e32 v4, 32, v5
	v_ldexp_f32 v5, v3, v4
	s_branch .LBB15_867
.LBB15_865:
	s_mov_b64 s[0:1], -1
                                        ; implicit-def: $vgpr5
.LBB15_866:
	s_mov_b64 s[10:11], 0
.LBB15_867:
	s_and_b64 vcc, exec, s[10:11]
	s_cbranch_vccz .LBB15_885
; %bb.868:
	s_cmp_lt_i32 s14, 27
	s_cbranch_scc1 .LBB15_871
; %bb.869:
	s_cmp_gt_i32 s14, 27
	s_cbranch_scc0 .LBB15_872
; %bb.870:
	global_load_dword v3, v[1:2], off
	s_mov_b64 s[8:9], 0
	s_waitcnt vmcnt(0)
	v_cvt_f32_u32_e32 v5, v3
	s_branch .LBB15_873
.LBB15_871:
	s_mov_b64 s[8:9], -1
                                        ; implicit-def: $vgpr5
	s_branch .LBB15_876
.LBB15_872:
	s_mov_b64 s[8:9], -1
                                        ; implicit-def: $vgpr5
.LBB15_873:
	s_andn2_b64 vcc, exec, s[8:9]
	s_cbranch_vccnz .LBB15_875
; %bb.874:
	global_load_ushort v3, v[1:2], off
	s_waitcnt vmcnt(0)
	v_cvt_f32_u32_e32 v5, v3
.LBB15_875:
	s_mov_b64 s[8:9], 0
.LBB15_876:
	s_andn2_b64 vcc, exec, s[8:9]
	s_cbranch_vccnz .LBB15_884
; %bb.877:
	global_load_ubyte v3, v[1:2], off
	s_movk_i32 s8, 0x7f
	s_waitcnt vmcnt(0)
	v_cmp_lt_i16_e32 vcc, s8, v3
	s_mov_b64 s[8:9], 0
	s_and_saveexec_b64 s[10:11], vcc
	s_xor_b64 s[10:11], exec, s[10:11]
	s_cbranch_execz .LBB15_898
; %bb.878:
	s_movk_i32 s8, 0x80
	v_cmp_eq_u16_e32 vcc, s8, v3
	s_mov_b64 s[8:9], -1
	s_and_saveexec_b64 s[12:13], vcc
; %bb.879:
	s_xor_b64 s[8:9], exec, -1
; %bb.880:
	s_or_b64 exec, exec, s[12:13]
	s_and_b64 s[8:9], s[8:9], exec
	s_or_saveexec_b64 s[10:11], s[10:11]
	v_mov_b32_e32 v5, 0x7f800001
	s_xor_b64 exec, exec, s[10:11]
	s_cbranch_execnz .LBB15_899
.LBB15_881:
	s_or_b64 exec, exec, s[10:11]
	s_and_saveexec_b64 s[10:11], s[8:9]
	s_cbranch_execz .LBB15_883
.LBB15_882:
	v_lshlrev_b32_e32 v4, 24, v3
	v_and_b32_e32 v3, 0xffff, v3
	v_and_b32_e32 v5, 7, v3
	v_ffbh_u32_e32 v7, v5
	v_min_u32_e32 v7, 32, v7
	v_subrev_u32_e32 v8, 28, v7
	v_bfe_u32 v6, v3, 3, 4
	v_lshlrev_b32_e32 v3, v8, v3
	v_sub_u32_e32 v7, 29, v7
	v_and_b32_e32 v3, 7, v3
	v_cmp_eq_u32_e32 vcc, 0, v6
	v_cndmask_b32_e32 v6, v6, v7, vcc
	v_cndmask_b32_e32 v3, v5, v3, vcc
	v_mov_b32_e32 v5, 0x3b800000
	v_lshlrev_b32_e32 v3, 20, v3
	v_and_b32_e32 v4, 0x80000000, v4
	v_lshl_add_u32 v5, v6, 23, v5
	v_or3_b32 v5, v4, v5, v3
.LBB15_883:
	s_or_b64 exec, exec, s[10:11]
.LBB15_884:
	s_mov_b64 s[8:9], -1
.LBB15_885:
	s_mov_b64 s[10:11], 0
.LBB15_886:
	s_and_b64 vcc, exec, s[10:11]
	s_cbranch_vccz .LBB15_919
; %bb.887:
	s_cmp_gt_i32 s14, 22
	s_cbranch_scc0 .LBB15_897
; %bb.888:
	s_cmp_lt_i32 s14, 24
	s_cbranch_scc1 .LBB15_900
; %bb.889:
	s_cmp_gt_i32 s14, 24
	s_cbranch_scc0 .LBB15_901
; %bb.890:
	global_load_ubyte v3, v[1:2], off
	s_movk_i32 s2, 0x7f
	s_waitcnt vmcnt(0)
	v_cmp_lt_i16_e32 vcc, s2, v3
	s_mov_b64 s[2:3], 0
	s_and_saveexec_b64 s[8:9], vcc
	s_xor_b64 s[8:9], exec, s[8:9]
	s_cbranch_execz .LBB15_913
; %bb.891:
	s_movk_i32 s2, 0x80
	v_cmp_eq_u16_e32 vcc, s2, v3
	s_mov_b64 s[2:3], -1
	s_and_saveexec_b64 s[10:11], vcc
; %bb.892:
	s_xor_b64 s[2:3], exec, -1
; %bb.893:
	s_or_b64 exec, exec, s[10:11]
	s_and_b64 s[2:3], s[2:3], exec
	s_or_saveexec_b64 s[8:9], s[8:9]
	v_mov_b32_e32 v5, 0x7f800001
	s_xor_b64 exec, exec, s[8:9]
	s_cbranch_execnz .LBB15_914
.LBB15_894:
	s_or_b64 exec, exec, s[8:9]
	s_and_saveexec_b64 s[8:9], s[2:3]
	s_cbranch_execz .LBB15_896
.LBB15_895:
	v_lshlrev_b32_e32 v4, 24, v3
	v_and_b32_e32 v3, 0xffff, v3
	v_and_b32_e32 v5, 3, v3
	v_ffbh_u32_e32 v7, v5
	v_min_u32_e32 v7, 32, v7
	v_subrev_u32_e32 v8, 29, v7
	v_bfe_u32 v6, v3, 2, 5
	v_lshlrev_b32_e32 v3, v8, v3
	v_sub_u32_e32 v7, 30, v7
	v_and_b32_e32 v3, 3, v3
	v_cmp_eq_u32_e32 vcc, 0, v6
	v_cndmask_b32_e32 v6, v6, v7, vcc
	v_cndmask_b32_e32 v3, v5, v3, vcc
	v_mov_b32_e32 v5, 0x37800000
	v_lshlrev_b32_e32 v3, 21, v3
	v_and_b32_e32 v4, 0x80000000, v4
	v_lshl_add_u32 v5, v6, 23, v5
	v_or3_b32 v5, v4, v5, v3
.LBB15_896:
	s_or_b64 exec, exec, s[8:9]
	s_mov_b64 s[2:3], 0
	s_branch .LBB15_902
.LBB15_897:
	s_mov_b64 s[2:3], -1
                                        ; implicit-def: $vgpr5
	s_branch .LBB15_908
.LBB15_898:
	s_or_saveexec_b64 s[10:11], s[10:11]
	v_mov_b32_e32 v5, 0x7f800001
	s_xor_b64 exec, exec, s[10:11]
	s_cbranch_execz .LBB15_881
.LBB15_899:
	v_cmp_ne_u16_e32 vcc, 0, v3
	s_andn2_b64 s[8:9], s[8:9], exec
	s_and_b64 s[12:13], vcc, exec
	v_mov_b32_e32 v5, 0
	s_or_b64 s[8:9], s[8:9], s[12:13]
	s_or_b64 exec, exec, s[10:11]
	s_and_saveexec_b64 s[10:11], s[8:9]
	s_cbranch_execnz .LBB15_882
	s_branch .LBB15_883
.LBB15_900:
	s_mov_b64 s[2:3], -1
                                        ; implicit-def: $vgpr5
	s_branch .LBB15_905
.LBB15_901:
	s_mov_b64 s[2:3], -1
                                        ; implicit-def: $vgpr5
.LBB15_902:
	s_and_b64 vcc, exec, s[2:3]
	s_cbranch_vccz .LBB15_904
; %bb.903:
	global_load_ubyte v3, v[1:2], off
	s_mov_b32 s2, 0x7f800000
	s_waitcnt vmcnt(0)
	v_lshlrev_b32_e32 v3, 24, v3
	v_and_b32_e32 v4, 0x7f000000, v3
	v_ffbh_u32_e32 v5, v4
	v_min_u32_e32 v5, 32, v5
	v_sub_u32_e64 v5, v5, 4 clamp
	v_lshlrev_b32_e32 v7, v5, v4
	v_lshlrev_b32_e32 v5, 23, v5
	v_lshrrev_b32_e32 v7, 4, v7
	v_add_u32_e32 v6, 0x1000000, v4
	v_sub_u32_e32 v5, v7, v5
	v_ashrrev_i32_e32 v6, 8, v6
	v_add_u32_e32 v5, 0x3c000000, v5
	v_and_or_b32 v5, v6, s2, v5
	v_cmp_ne_u32_e32 vcc, 0, v4
	v_cndmask_b32_e32 v4, 0, v5, vcc
	s_brev_b32 s2, 1
	v_and_or_b32 v5, v3, s2, v4
.LBB15_904:
	s_mov_b64 s[2:3], 0
.LBB15_905:
	s_andn2_b64 vcc, exec, s[2:3]
	s_cbranch_vccnz .LBB15_907
; %bb.906:
	global_load_ubyte v3, v[1:2], off
	s_movk_i32 s2, 0x7f00
	s_brev_b32 s3, 16
	s_waitcnt vmcnt(0)
	v_lshlrev_b16_e32 v4, 8, v3
	v_lshlrev_b32_e32 v3, 25, v3
	v_lshrrev_b32_e32 v5, 4, v3
	v_and_or_b32 v6, v4, s2, 0.5
	v_or_b32_e32 v5, 0x70000000, v5
	v_add_f32_e32 v6, -0.5, v6
	v_mul_f32_e32 v5, 0x7800000, v5
	v_cmp_gt_u32_e32 vcc, s3, v3
	v_bfe_i32 v4, v4, 0, 16
	v_cndmask_b32_e32 v3, v5, v6, vcc
	s_brev_b32 s2, 1
	v_and_or_b32 v5, v4, s2, v3
.LBB15_907:
	s_mov_b64 s[2:3], 0
	s_mov_b64 s[8:9], -1
.LBB15_908:
	s_andn2_b64 vcc, exec, s[2:3]
	s_mov_b64 s[2:3], 0
	s_cbranch_vccnz .LBB15_919
; %bb.909:
	s_cmp_gt_i32 s14, 14
	s_cbranch_scc0 .LBB15_912
; %bb.910:
	s_cmp_eq_u32 s14, 15
	s_cbranch_scc0 .LBB15_915
; %bb.911:
	global_load_ushort v3, v[1:2], off
	s_mov_b64 s[0:1], 0
	s_mov_b64 s[8:9], -1
	s_waitcnt vmcnt(0)
	v_lshlrev_b32_e32 v5, 16, v3
	s_branch .LBB15_916
.LBB15_912:
	s_mov_b64 s[10:11], -1
                                        ; implicit-def: $vgpr5
	s_branch .LBB15_917
.LBB15_913:
	s_or_saveexec_b64 s[8:9], s[8:9]
	v_mov_b32_e32 v5, 0x7f800001
	s_xor_b64 exec, exec, s[8:9]
	s_cbranch_execz .LBB15_894
.LBB15_914:
	v_cmp_ne_u16_e32 vcc, 0, v3
	s_andn2_b64 s[2:3], s[2:3], exec
	s_and_b64 s[10:11], vcc, exec
	v_mov_b32_e32 v5, 0
	s_or_b64 s[2:3], s[2:3], s[10:11]
	s_or_b64 exec, exec, s[8:9]
	s_and_saveexec_b64 s[8:9], s[2:3]
	s_cbranch_execnz .LBB15_895
	s_branch .LBB15_896
.LBB15_915:
	s_mov_b64 s[0:1], -1
                                        ; implicit-def: $vgpr5
.LBB15_916:
	s_mov_b64 s[10:11], 0
.LBB15_917:
	s_and_b64 vcc, exec, s[10:11]
	s_cbranch_vccz .LBB15_919
; %bb.918:
	s_cmp_lg_u32 s14, 11
	s_cselect_b64 s[10:11], -1, 0
	s_andn2_b64 s[0:1], s[0:1], exec
	s_and_b64 s[10:11], s[10:11], exec
	s_mov_b64 s[2:3], -1
	s_or_b64 s[0:1], s[0:1], s[10:11]
.LBB15_919:
	s_mov_b64 s[12:13], 0
.LBB15_920:
	s_and_b64 s[10:11], s[8:9], exec
	s_and_b64 s[8:9], s[12:13], exec
	s_andn2_b64 s[12:13], s[68:69], exec
	s_and_b64 s[0:1], s[0:1], exec
	s_and_b64 s[2:3], s[2:3], exec
	s_or_b64 s[12:13], s[12:13], s[0:1]
.LBB15_921:
	s_or_b64 exec, exec, s[72:73]
	s_and_b64 s[0:1], s[2:3], exec
	s_andn2_b64 s[2:3], s[68:69], exec
	s_and_b64 s[12:13], s[12:13], exec
	s_and_b64 s[10:11], s[10:11], exec
	;; [unrolled: 1-line block ×3, first 2 shown]
	s_or_b64 s[68:69], s[2:3], s[12:13]
.LBB15_922:
	s_or_b64 exec, exec, s[66:67]
	s_andn2_b64 s[2:3], s[62:63], exec
	s_and_b64 s[12:13], s[70:71], exec
	s_or_b64 s[62:63], s[2:3], s[12:13]
	s_and_b64 s[2:3], s[0:1], exec
	s_andn2_b64 s[0:1], s[60:61], exec
	s_and_b64 s[12:13], s[68:69], exec
	s_and_b64 s[10:11], s[10:11], exec
	;; [unrolled: 1-line block ×3, first 2 shown]
	s_or_b64 s[60:61], s[0:1], s[12:13]
.LBB15_923:
	s_or_b64 exec, exec, s[64:65]
	s_andn2_b64 s[0:1], s[54:55], exec
	s_and_b64 s[12:13], s[62:63], exec
	s_or_b64 s[54:55], s[0:1], s[12:13]
	s_and_b64 s[0:1], s[10:11], exec
	s_and_b64 s[10:11], s[8:9], exec
	;; [unrolled: 1-line block ×3, first 2 shown]
	s_andn2_b64 s[2:3], s[56:57], exec
	s_and_b64 s[8:9], s[60:61], exec
	s_or_b64 s[56:57], s[2:3], s[8:9]
	s_or_b64 exec, exec, s[58:59]
	s_mov_b64 s[2:3], 0
	s_and_saveexec_b64 s[8:9], s[56:57]
	s_cbranch_execz .LBB15_276
.LBB15_924:
	s_mov_b64 s[2:3], exec
	s_andn2_b64 s[62:63], s[62:63], exec
	s_trap 2
	s_or_b64 exec, exec, s[8:9]
	s_and_saveexec_b64 s[8:9], s[62:63]
	s_xor_b64 s[8:9], exec, s[8:9]
	s_cbranch_execnz .LBB15_277
.LBB15_925:
	s_or_b64 exec, exec, s[8:9]
	s_and_saveexec_b64 s[8:9], s[10:11]
	s_cbranch_execz .LBB15_971
.LBB15_926:
	s_sext_i32_i16 s10, s75
	s_cmp_lt_i32 s10, 5
	s_cbranch_scc1 .LBB15_931
; %bb.927:
	s_cmp_lt_i32 s10, 8
	s_cbranch_scc1 .LBB15_932
; %bb.928:
	;; [unrolled: 3-line block ×3, first 2 shown]
	s_cmp_gt_i32 s10, 9
	s_cbranch_scc0 .LBB15_934
; %bb.930:
	global_load_dwordx2 v[3:4], v[1:2], off
	s_mov_b64 s[10:11], 0
	s_waitcnt vmcnt(0)
	v_cvt_f32_f64_e32 v5, v[3:4]
	s_branch .LBB15_935
.LBB15_931:
                                        ; implicit-def: $vgpr5
	s_branch .LBB15_952
.LBB15_932:
                                        ; implicit-def: $vgpr5
	s_branch .LBB15_941
.LBB15_933:
	s_mov_b64 s[10:11], -1
                                        ; implicit-def: $vgpr5
	s_branch .LBB15_938
.LBB15_934:
	s_mov_b64 s[10:11], -1
                                        ; implicit-def: $vgpr5
.LBB15_935:
	s_andn2_b64 vcc, exec, s[10:11]
	s_cbranch_vccnz .LBB15_937
; %bb.936:
	global_load_dword v5, v[1:2], off
.LBB15_937:
	s_mov_b64 s[10:11], 0
.LBB15_938:
	s_andn2_b64 vcc, exec, s[10:11]
	s_cbranch_vccnz .LBB15_940
; %bb.939:
	global_load_dword v3, v[1:2], off
	s_waitcnt vmcnt(0)
	v_cvt_f32_f16_e32 v5, v3
.LBB15_940:
	s_cbranch_execnz .LBB15_951
.LBB15_941:
	s_sext_i32_i16 s10, s75
	s_cmp_lt_i32 s10, 6
	s_cbranch_scc1 .LBB15_944
; %bb.942:
	s_cmp_gt_i32 s10, 6
	s_cbranch_scc0 .LBB15_945
; %bb.943:
	global_load_dwordx2 v[3:4], v[1:2], off
	s_mov_b64 s[10:11], 0
	s_waitcnt vmcnt(0)
	v_cvt_f32_f64_e32 v5, v[3:4]
	s_branch .LBB15_946
.LBB15_944:
	s_mov_b64 s[10:11], -1
                                        ; implicit-def: $vgpr5
	s_branch .LBB15_949
.LBB15_945:
	s_mov_b64 s[10:11], -1
                                        ; implicit-def: $vgpr5
.LBB15_946:
	s_andn2_b64 vcc, exec, s[10:11]
	s_cbranch_vccnz .LBB15_948
; %bb.947:
	global_load_dword v5, v[1:2], off
.LBB15_948:
	s_mov_b64 s[10:11], 0
.LBB15_949:
	s_andn2_b64 vcc, exec, s[10:11]
	s_cbranch_vccnz .LBB15_951
; %bb.950:
	global_load_ushort v3, v[1:2], off
	s_waitcnt vmcnt(0)
	v_cvt_f32_f16_e32 v5, v3
.LBB15_951:
	s_cbranch_execnz .LBB15_970
.LBB15_952:
	s_sext_i32_i16 s10, s75
	s_cmp_lt_i32 s10, 2
	s_cbranch_scc1 .LBB15_956
; %bb.953:
	s_cmp_lt_i32 s10, 3
	s_cbranch_scc1 .LBB15_957
; %bb.954:
	s_cmp_gt_i32 s10, 3
	s_cbranch_scc0 .LBB15_958
; %bb.955:
	global_load_dwordx2 v[3:4], v[1:2], off
	s_mov_b64 s[10:11], 0
	s_waitcnt vmcnt(0)
	v_xor_b32_e32 v6, v3, v4
	v_ffbh_i32_e32 v5, v4
	v_ashrrev_i32_e32 v6, 31, v6
	v_add_u32_e32 v5, -1, v5
	v_add_u32_e32 v6, 32, v6
	v_min_u32_e32 v5, v5, v6
	v_lshlrev_b64 v[3:4], v5, v[3:4]
	v_min_u32_e32 v3, 1, v3
	v_or_b32_e32 v3, v4, v3
	v_cvt_f32_i32_e32 v3, v3
	v_sub_u32_e32 v4, 32, v5
	v_ldexp_f32 v5, v3, v4
	s_branch .LBB15_959
.LBB15_956:
                                        ; implicit-def: $vgpr5
	s_branch .LBB15_965
.LBB15_957:
	s_mov_b64 s[10:11], -1
                                        ; implicit-def: $vgpr5
	s_branch .LBB15_962
.LBB15_958:
	s_mov_b64 s[10:11], -1
                                        ; implicit-def: $vgpr5
.LBB15_959:
	s_andn2_b64 vcc, exec, s[10:11]
	s_cbranch_vccnz .LBB15_961
; %bb.960:
	global_load_dword v3, v[1:2], off
	s_waitcnt vmcnt(0)
	v_cvt_f32_i32_e32 v5, v3
.LBB15_961:
	s_mov_b64 s[10:11], 0
.LBB15_962:
	s_andn2_b64 vcc, exec, s[10:11]
	s_cbranch_vccnz .LBB15_964
; %bb.963:
	global_load_sshort v3, v[1:2], off
	s_waitcnt vmcnt(0)
	v_cvt_f32_i32_e32 v5, v3
.LBB15_964:
	s_cbranch_execnz .LBB15_970
.LBB15_965:
	s_sext_i32_i16 s10, s75
	s_cmp_gt_i32 s10, 0
	s_cbranch_scc0 .LBB15_967
; %bb.966:
	global_load_sbyte v3, v[1:2], off
	s_mov_b64 s[10:11], 0
	s_waitcnt vmcnt(0)
	v_cvt_f32_i32_e32 v5, v3
	s_branch .LBB15_968
.LBB15_967:
	s_mov_b64 s[10:11], -1
                                        ; implicit-def: $vgpr5
.LBB15_968:
	s_andn2_b64 vcc, exec, s[10:11]
	s_cbranch_vccnz .LBB15_970
; %bb.969:
	global_load_ubyte v1, v[1:2], off
	s_waitcnt vmcnt(0)
	v_cvt_f32_ubyte0_e32 v5, v1
.LBB15_970:
	s_or_b64 s[0:1], s[0:1], exec
.LBB15_971:
	s_or_b64 exec, exec, s[8:9]
	s_mov_b64 s[12:13], 0
	s_mov_b64 s[10:11], 0
                                        ; implicit-def: $sgpr18
                                        ; implicit-def: $vgpr3_vgpr4
                                        ; implicit-def: $vgpr1
	s_and_saveexec_b64 s[8:9], s[0:1]
	s_cbranch_execz .LBB15_991
; %bb.972:
	s_waitcnt vmcnt(0)
	v_cmp_lt_f32_e32 vcc, s44, v5
	v_mov_b32_e32 v1, 1.0
	s_and_saveexec_b64 s[0:1], vcc
	s_cbranch_execz .LBB15_974
; %bb.973:
	v_add_f32_e32 v1, 0x33d6bf95, v5
	v_div_scale_f32 v2, s[10:11], v1, v1, s44
	v_div_scale_f32 v3, vcc, s44, v1, s44
	v_rcp_f32_e32 v4, v2
	v_fma_f32 v5, -v2, v4, 1.0
	v_fmac_f32_e32 v4, v5, v4
	v_mul_f32_e32 v5, v3, v4
	v_fma_f32 v6, -v2, v5, v3
	v_fmac_f32_e32 v5, v6, v4
	v_fma_f32 v2, -v2, v5, v3
	v_div_fmas_f32 v2, v2, v4, v5
	v_div_fixup_f32 v1, v2, v1, s44
.LBB15_974:
	s_or_b64 exec, exec, s[0:1]
	v_mov_b32_e32 v2, s25
	s_and_b32 s18, s45, 0xff
	v_add_co_u32_e32 v3, vcc, s24, v0
	s_cmp_lt_i32 s18, 11
	v_addc_co_u32_e32 v4, vcc, 0, v2, vcc
	s_cbranch_scc1 .LBB15_994
; %bb.975:
	s_and_b32 s19, 0xffff, s18
	s_mov_b64 s[12:13], -1
	s_cmp_gt_i32 s19, 25
	s_mov_b64 s[0:1], s[54:55]
	s_cbranch_scc0 .LBB15_1012
; %bb.976:
	s_mov_b64 s[10:11], -1
	s_cmp_gt_i32 s19, 28
	s_mov_b64 s[0:1], s[54:55]
	s_cbranch_scc0 .LBB15_996
; %bb.977:
	s_cmp_gt_i32 s19, 43
	s_mov_b64 s[0:1], s[54:55]
	s_cbranch_scc0 .LBB15_988
; %bb.978:
	;; [unrolled: 4-line block ×3, first 2 shown]
	s_cmp_eq_u32 s19, 46
	s_mov_b64 s[0:1], -1
	s_cbranch_scc0 .LBB15_981
; %bb.980:
	v_bfe_u32 v0, v1, 16, 1
	s_movk_i32 s0, 0x7fff
	v_add3_u32 v0, v1, v0, s0
	v_cmp_o_f32_e32 vcc, v1, v1
	v_mov_b32_e32 v2, 0x7fc0
	v_cndmask_b32_sdwa v0, v2, v0, vcc dst_sel:DWORD dst_unused:UNUSED_PAD src0_sel:DWORD src1_sel:WORD_1
	global_store_dword v[3:4], v0, off
	s_mov_b64 s[0:1], 0
.LBB15_981:
	s_mov_b64 s[10:11], 0
.LBB15_982:
	s_and_b64 vcc, exec, s[10:11]
	s_cbranch_vccz .LBB15_987
; %bb.983:
	s_cmp_eq_u32 s19, 44
	s_mov_b64 s[0:1], -1
	s_cbranch_scc0 .LBB15_987
; %bb.984:
	v_bfe_u32 v0, v1, 23, 8
	s_movk_i32 s0, 0xff
	v_cmp_ne_u32_e32 vcc, s0, v0
	v_mov_b32_e32 v2, 0xff
	s_and_saveexec_b64 s[10:11], vcc
; %bb.985:
	s_mov_b32 s0, 0x3fffff
	v_and_b32_e32 v5, 0x400000, v1
	v_and_or_b32 v0, v1, s0, v0
	v_cmp_ne_u32_e32 vcc, 0, v5
	v_cmp_ne_u32_e64 s[0:1], 0, v0
	s_and_b64 s[0:1], vcc, s[0:1]
	v_lshrrev_b32_e32 v2, 23, v1
	v_cndmask_b32_e64 v0, 0, 1, s[0:1]
	v_add_u32_e32 v2, v2, v0
; %bb.986:
	s_or_b64 exec, exec, s[10:11]
	s_mov_b64 s[0:1], 0
	global_store_byte v[3:4], v2, off
.LBB15_987:
	s_mov_b64 s[10:11], 0
.LBB15_988:
	s_and_b64 vcc, exec, s[10:11]
	s_cbranch_vccz .LBB15_995
; %bb.989:
	s_cmp_eq_u32 s19, 29
	s_mov_b64 s[0:1], -1
	s_cbranch_scc0 .LBB15_995
; %bb.990:
	v_trunc_f32_e32 v0, v1
	v_mul_f32_e32 v2, 0x2f800000, v0
	v_floor_f32_e32 v2, v2
	v_fmac_f32_e32 v0, 0xcf800000, v2
	v_cvt_u32_f32_e32 v6, v2
	v_cvt_u32_f32_e32 v5, v0
	s_mov_b64 s[0:1], 0
	s_mov_b64 s[10:11], 0
	global_store_dwordx2 v[3:4], v[5:6], off
	s_branch .LBB15_996
.LBB15_991:
	s_or_b64 exec, exec, s[8:9]
	s_and_saveexec_b64 s[0:1], s[54:55]
	s_cbranch_execnz .LBB15_1054
.LBB15_992:
	s_or_b64 exec, exec, s[0:1]
	s_and_saveexec_b64 s[0:1], s[12:13]
	s_xor_b64 s[0:1], exec, s[0:1]
	s_cbranch_execz .LBB15_1055
.LBB15_993:
	v_cmp_neq_f32_e32 vcc, 0, v1
	v_cndmask_b32_e64 v0, 0, 1, vcc
	s_waitcnt vmcnt(0)
	global_store_byte v[3:4], v0, off
	s_or_b64 exec, exec, s[0:1]
	s_and_saveexec_b64 s[0:1], s[10:11]
	s_xor_b64 s[0:1], exec, s[0:1]
	s_cbranch_execz .LBB15_1093
	s_branch .LBB15_1056
.LBB15_994:
	s_mov_b64 s[10:11], -1
	s_mov_b64 s[0:1], s[54:55]
	s_branch .LBB15_1053
.LBB15_995:
	s_mov_b64 s[10:11], 0
.LBB15_996:
	s_and_b64 vcc, exec, s[10:11]
	s_cbranch_vccz .LBB15_1011
; %bb.997:
	s_cmp_lt_i32 s19, 27
	s_mov_b64 s[10:11], -1
	s_cbranch_scc1 .LBB15_1003
; %bb.998:
	s_cmp_gt_i32 s19, 27
	s_cbranch_scc0 .LBB15_1000
; %bb.999:
	v_cvt_u32_f32_e32 v0, v1
	s_mov_b64 s[10:11], 0
	global_store_dword v[3:4], v0, off
.LBB15_1000:
	s_andn2_b64 vcc, exec, s[10:11]
	s_cbranch_vccnz .LBB15_1002
; %bb.1001:
	v_cvt_u32_f32_e32 v0, v1
	global_store_short v[3:4], v0, off
.LBB15_1002:
	s_mov_b64 s[10:11], 0
.LBB15_1003:
	s_andn2_b64 vcc, exec, s[10:11]
	s_cbranch_vccnz .LBB15_1011
; %bb.1004:
	v_and_b32_e32 v0, 0x7fffffff, v1
	s_mov_b32 s10, 0x43800000
	v_cmp_gt_u32_e32 vcc, s10, v0
	v_mov_b32_e32 v2, 0x80
	s_and_saveexec_b64 s[10:11], vcc
	s_cbranch_execz .LBB15_1010
; %bb.1005:
	s_mov_b32 s12, 0x3bffffff
	v_cmp_lt_u32_e32 vcc, s12, v0
	s_mov_b64 s[12:13], 0
                                        ; implicit-def: $vgpr0
	s_and_saveexec_b64 s[14:15], vcc
	s_xor_b64 s[14:15], exec, s[14:15]
	s_cbranch_execz .LBB15_1164
; %bb.1006:
	v_bfe_u32 v0, v1, 20, 1
	s_mov_b32 s16, 0x487ffff
	v_add3_u32 v0, v1, v0, s16
	s_mov_b64 s[12:13], exec
	v_lshrrev_b32_e32 v0, 20, v0
	s_andn2_saveexec_b64 s[14:15], s[14:15]
	s_cbranch_execnz .LBB15_1165
.LBB15_1007:
	s_or_b64 exec, exec, s[14:15]
	v_mov_b32_e32 v2, 0
	s_and_saveexec_b64 s[14:15], s[12:13]
.LBB15_1008:
	v_lshrrev_b32_e32 v2, 24, v1
	s_movk_i32 s12, 0x80
	v_and_or_b32 v2, v2, s12, v0
.LBB15_1009:
	s_or_b64 exec, exec, s[14:15]
.LBB15_1010:
	s_or_b64 exec, exec, s[10:11]
	global_store_byte v[3:4], v2, off
.LBB15_1011:
	s_mov_b64 s[12:13], 0
.LBB15_1012:
	s_mov_b64 s[10:11], 0
	s_and_b64 vcc, exec, s[12:13]
	s_cbranch_vccz .LBB15_1052
; %bb.1013:
	s_cmp_gt_i32 s19, 22
	s_mov_b64 s[12:13], -1
	s_cbranch_scc0 .LBB15_1045
; %bb.1014:
	s_cmp_lt_i32 s19, 24
	s_cbranch_scc1 .LBB15_1034
; %bb.1015:
	s_cmp_gt_i32 s19, 24
	s_cbranch_scc0 .LBB15_1023
; %bb.1016:
	v_and_b32_e32 v0, 0x7fffffff, v1
	s_mov_b32 s12, 0x47800000
	v_cmp_gt_u32_e32 vcc, s12, v0
	v_mov_b32_e32 v2, 0x80
	s_and_saveexec_b64 s[12:13], vcc
	s_cbranch_execz .LBB15_1022
; %bb.1017:
	s_mov_b32 s14, 0x37ffffff
	v_cmp_lt_u32_e32 vcc, s14, v0
	s_mov_b64 s[14:15], 0
                                        ; implicit-def: $vgpr0
	s_and_saveexec_b64 s[16:17], vcc
	s_xor_b64 s[16:17], exec, s[16:17]
	s_cbranch_execz .LBB15_1291
; %bb.1018:
	v_bfe_u32 v0, v1, 21, 1
	s_mov_b32 s20, 0x88fffff
	v_add3_u32 v0, v1, v0, s20
	s_mov_b64 s[14:15], exec
	v_lshrrev_b32_e32 v0, 21, v0
	s_andn2_saveexec_b64 s[16:17], s[16:17]
	s_cbranch_execnz .LBB15_1292
.LBB15_1019:
	s_or_b64 exec, exec, s[16:17]
	v_mov_b32_e32 v2, 0
	s_and_saveexec_b64 s[16:17], s[14:15]
.LBB15_1020:
	v_lshrrev_b32_e32 v2, 24, v1
	s_movk_i32 s14, 0x80
	v_and_or_b32 v2, v2, s14, v0
.LBB15_1021:
	s_or_b64 exec, exec, s[16:17]
.LBB15_1022:
	s_or_b64 exec, exec, s[12:13]
	s_mov_b64 s[12:13], 0
	global_store_byte v[3:4], v2, off
.LBB15_1023:
	s_and_b64 vcc, exec, s[12:13]
	s_cbranch_vccz .LBB15_1033
; %bb.1024:
	v_and_b32_e32 v2, 0x7fffffff, v1
	s_mov_b32 s12, 0x43f00000
	v_cmp_gt_u32_e32 vcc, s12, v2
                                        ; implicit-def: $vgpr0
	s_and_saveexec_b64 s[12:13], vcc
	s_xor_b64 s[12:13], exec, s[12:13]
	s_cbranch_execz .LBB15_1030
; %bb.1025:
	s_mov_b32 s14, 0x3c7fffff
	v_cmp_lt_u32_e32 vcc, s14, v2
                                        ; implicit-def: $vgpr0
	s_and_saveexec_b64 s[14:15], vcc
	s_xor_b64 s[14:15], exec, s[14:15]
; %bb.1026:
	v_bfe_u32 v0, v1, 20, 1
	s_mov_b32 s16, 0x407ffff
	v_add3_u32 v0, v1, v0, s16
	v_lshrrev_b32_e32 v2, 20, v0
	v_and_b32_e32 v0, 0xff00000, v0
	s_mov_b32 s16, 0x7f00000
	v_mov_b32_e32 v5, 0x7e
	v_cmp_ne_u32_e32 vcc, s16, v0
	v_cndmask_b32_e32 v0, v5, v2, vcc
; %bb.1027:
	s_andn2_saveexec_b64 s[14:15], s[14:15]
; %bb.1028:
	s_mov_b32 s16, 0x46800000
	v_add_f32_e64 v0, |v1|, s16
; %bb.1029:
	s_or_b64 exec, exec, s[14:15]
                                        ; implicit-def: $vgpr2
.LBB15_1030:
	s_andn2_saveexec_b64 s[12:13], s[12:13]
; %bb.1031:
	s_mov_b32 s14, 0x7f800000
	v_mov_b32_e32 v0, 0x7e
	v_mov_b32_e32 v5, 0x7f
	v_cmp_lt_u32_e32 vcc, s14, v2
	v_cndmask_b32_e32 v0, v0, v5, vcc
; %bb.1032:
	s_or_b64 exec, exec, s[12:13]
	v_lshrrev_b32_e32 v2, 24, v1
	s_movk_i32 s12, 0x80
	v_and_or_b32 v0, v2, s12, v0
	global_store_byte v[3:4], v0, off
.LBB15_1033:
	s_mov_b64 s[12:13], 0
.LBB15_1034:
	s_andn2_b64 vcc, exec, s[12:13]
	s_cbranch_vccnz .LBB15_1044
; %bb.1035:
	v_and_b32_e32 v2, 0x7fffffff, v1
	s_mov_b32 s12, 0x47800000
	v_cmp_gt_u32_e32 vcc, s12, v2
                                        ; implicit-def: $vgpr0
	s_and_saveexec_b64 s[12:13], vcc
	s_xor_b64 s[12:13], exec, s[12:13]
	s_cbranch_execz .LBB15_1041
; %bb.1036:
	s_mov_b32 s14, 0x387fffff
	v_cmp_lt_u32_e32 vcc, s14, v2
                                        ; implicit-def: $vgpr0
	s_and_saveexec_b64 s[14:15], vcc
	s_xor_b64 s[14:15], exec, s[14:15]
; %bb.1037:
	v_bfe_u32 v0, v1, 21, 1
	s_mov_b32 s16, 0x80fffff
	v_add3_u32 v0, v1, v0, s16
	v_lshrrev_b32_e32 v0, 21, v0
; %bb.1038:
	s_andn2_saveexec_b64 s[14:15], s[14:15]
; %bb.1039:
	s_mov_b32 s16, 0x43000000
	v_add_f32_e64 v0, |v1|, s16
; %bb.1040:
	s_or_b64 exec, exec, s[14:15]
                                        ; implicit-def: $vgpr2
.LBB15_1041:
	s_andn2_saveexec_b64 s[12:13], s[12:13]
; %bb.1042:
	s_mov_b32 s14, 0x7f800000
	v_mov_b32_e32 v0, 0x7c
	v_mov_b32_e32 v5, 0x7f
	v_cmp_lt_u32_e32 vcc, s14, v2
	v_cndmask_b32_e32 v0, v0, v5, vcc
; %bb.1043:
	s_or_b64 exec, exec, s[12:13]
	v_lshrrev_b32_e32 v2, 24, v1
	s_movk_i32 s12, 0x80
	v_and_or_b32 v0, v2, s12, v0
	global_store_byte v[3:4], v0, off
.LBB15_1044:
	s_mov_b64 s[12:13], 0
.LBB15_1045:
	s_andn2_b64 vcc, exec, s[12:13]
	s_mov_b64 s[12:13], 0
	s_cbranch_vccnz .LBB15_1053
; %bb.1046:
	s_cmp_gt_i32 s19, 14
	s_mov_b64 s[14:15], -1
	s_cbranch_scc0 .LBB15_1050
; %bb.1047:
	s_cmp_eq_u32 s19, 15
	s_mov_b64 s[0:1], -1
	s_cbranch_scc0 .LBB15_1049
; %bb.1048:
	v_bfe_u32 v0, v1, 16, 1
	s_movk_i32 s0, 0x7fff
	v_add3_u32 v0, v1, v0, s0
	v_cmp_o_f32_e32 vcc, v1, v1
	v_mov_b32_e32 v2, 0x7fc0
	v_cndmask_b32_sdwa v0, v2, v0, vcc dst_sel:DWORD dst_unused:UNUSED_PAD src0_sel:DWORD src1_sel:WORD_1
	global_store_short v[3:4], v0, off
	s_mov_b64 s[0:1], 0
.LBB15_1049:
	s_mov_b64 s[14:15], 0
.LBB15_1050:
	s_and_b64 vcc, exec, s[14:15]
	s_cbranch_vccz .LBB15_1053
; %bb.1051:
	s_cmp_lg_u32 s19, 11
	s_cselect_b64 s[14:15], -1, 0
	s_andn2_b64 s[0:1], s[0:1], exec
	s_and_b64 s[14:15], s[14:15], exec
	s_mov_b64 s[12:13], -1
	s_or_b64 s[0:1], s[0:1], s[14:15]
	s_branch .LBB15_1053
.LBB15_1052:
	s_mov_b64 s[12:13], 0
.LBB15_1053:
	s_andn2_b64 s[14:15], s[54:55], exec
	s_and_b64 s[0:1], s[0:1], exec
	s_and_b64 s[10:11], s[10:11], exec
	;; [unrolled: 1-line block ×3, first 2 shown]
	s_or_b64 s[54:55], s[14:15], s[0:1]
	s_or_b64 exec, exec, s[8:9]
	s_and_saveexec_b64 s[0:1], s[54:55]
	s_cbranch_execz .LBB15_992
.LBB15_1054:
	s_or_b64 s[2:3], s[2:3], exec
	s_andn2_b64 s[12:13], s[12:13], exec
	s_trap 2
	s_or_b64 exec, exec, s[0:1]
	s_and_saveexec_b64 s[0:1], s[12:13]
	s_xor_b64 s[0:1], exec, s[0:1]
	s_cbranch_execnz .LBB15_993
.LBB15_1055:
	s_or_b64 exec, exec, s[0:1]
	s_and_saveexec_b64 s[0:1], s[10:11]
	s_xor_b64 s[0:1], exec, s[0:1]
	s_cbranch_execz .LBB15_1093
.LBB15_1056:
	s_sext_i32_i16 s10, s18
	s_cmp_lt_i32 s10, 5
	s_mov_b64 s[8:9], -1
	s_cbranch_scc1 .LBB15_1077
; %bb.1057:
	s_cmp_lt_i32 s10, 8
	s_cbranch_scc1 .LBB15_1067
; %bb.1058:
	s_cmp_lt_i32 s10, 9
	s_cbranch_scc1 .LBB15_1064
; %bb.1059:
	s_cmp_gt_i32 s10, 9
	s_cbranch_scc0 .LBB15_1061
; %bb.1060:
	s_waitcnt vmcnt(0)
	v_cvt_f64_f32_e32 v[5:6], v1
	v_mov_b32_e32 v7, 0
	v_mov_b32_e32 v8, v7
	s_mov_b64 s[8:9], 0
	global_store_dwordx4 v[3:4], v[5:8], off
.LBB15_1061:
	s_andn2_b64 vcc, exec, s[8:9]
	s_cbranch_vccnz .LBB15_1063
; %bb.1062:
	v_mov_b32_e32 v2, 0
	s_waitcnt vmcnt(0)
	global_store_dwordx2 v[3:4], v[1:2], off
.LBB15_1063:
	s_mov_b64 s[8:9], 0
.LBB15_1064:
	s_andn2_b64 vcc, exec, s[8:9]
	s_cbranch_vccnz .LBB15_1066
; %bb.1065:
	v_cvt_f16_f32_e32 v0, v1
	s_waitcnt vmcnt(0)
	global_store_dword v[3:4], v0, off
.LBB15_1066:
	s_mov_b64 s[8:9], 0
.LBB15_1067:
	s_andn2_b64 vcc, exec, s[8:9]
	s_cbranch_vccnz .LBB15_1076
; %bb.1068:
	s_sext_i32_i16 s10, s18
	s_cmp_lt_i32 s10, 6
	s_mov_b64 s[8:9], -1
	s_cbranch_scc1 .LBB15_1074
; %bb.1069:
	s_cmp_gt_i32 s10, 6
	s_cbranch_scc0 .LBB15_1071
; %bb.1070:
	s_waitcnt vmcnt(0)
	v_cvt_f64_f32_e32 v[5:6], v1
	s_mov_b64 s[8:9], 0
	global_store_dwordx2 v[3:4], v[5:6], off
.LBB15_1071:
	s_andn2_b64 vcc, exec, s[8:9]
	s_cbranch_vccnz .LBB15_1073
; %bb.1072:
	s_waitcnt vmcnt(0)
	global_store_dword v[3:4], v1, off
.LBB15_1073:
	s_mov_b64 s[8:9], 0
.LBB15_1074:
	s_andn2_b64 vcc, exec, s[8:9]
	s_cbranch_vccnz .LBB15_1076
; %bb.1075:
	v_cvt_f16_f32_e32 v0, v1
	s_waitcnt vmcnt(0)
	global_store_short v[3:4], v0, off
.LBB15_1076:
	s_mov_b64 s[8:9], 0
.LBB15_1077:
	s_andn2_b64 vcc, exec, s[8:9]
	s_cbranch_vccnz .LBB15_1093
; %bb.1078:
	s_sext_i32_i16 s10, s18
	s_cmp_lt_i32 s10, 2
	s_mov_b64 s[8:9], -1
	s_cbranch_scc1 .LBB15_1088
; %bb.1079:
	s_cmp_lt_i32 s10, 3
	s_cbranch_scc1 .LBB15_1085
; %bb.1080:
	s_cmp_gt_i32 s10, 3
	s_cbranch_scc0 .LBB15_1082
; %bb.1081:
	v_trunc_f32_e32 v0, v1
	s_mov_b32 s8, 0x2f800000
	v_mul_f32_e64 v2, |v0|, s8
	v_floor_f32_e32 v2, v2
	s_mov_b32 s8, 0xcf800000
	s_waitcnt vmcnt(0)
	v_cvt_u32_f32_e32 v5, v2
	v_fma_f32 v2, v2, s8, |v0|
	v_cvt_u32_f32_e32 v2, v2
	v_ashrrev_i32_e32 v0, 31, v0
	v_xor_b32_e32 v6, v5, v0
	s_mov_b64 s[8:9], 0
	v_xor_b32_e32 v2, v2, v0
	v_sub_co_u32_e32 v5, vcc, v2, v0
	v_subb_co_u32_e32 v6, vcc, v6, v0, vcc
	global_store_dwordx2 v[3:4], v[5:6], off
.LBB15_1082:
	s_andn2_b64 vcc, exec, s[8:9]
	s_cbranch_vccnz .LBB15_1084
; %bb.1083:
	v_cvt_i32_f32_e32 v0, v1
	s_waitcnt vmcnt(0)
	global_store_dword v[3:4], v0, off
.LBB15_1084:
	s_mov_b64 s[8:9], 0
.LBB15_1085:
	s_andn2_b64 vcc, exec, s[8:9]
	s_cbranch_vccnz .LBB15_1087
; %bb.1086:
	v_cvt_i32_f32_e32 v0, v1
	s_waitcnt vmcnt(0)
	global_store_short v[3:4], v0, off
.LBB15_1087:
	s_mov_b64 s[8:9], 0
.LBB15_1088:
	s_andn2_b64 vcc, exec, s[8:9]
	s_cbranch_vccnz .LBB15_1093
; %bb.1089:
	s_sext_i32_i16 s8, s18
	s_cmp_gt_i32 s8, 0
	s_mov_b64 s[8:9], -1
	s_cbranch_scc0 .LBB15_1091
; %bb.1090:
	v_cvt_i32_f32_e32 v0, v1
	s_mov_b64 s[8:9], 0
	s_waitcnt vmcnt(0)
	global_store_byte v[3:4], v0, off
.LBB15_1091:
	s_andn2_b64 vcc, exec, s[8:9]
	s_cbranch_vccnz .LBB15_1093
; %bb.1092:
	v_trunc_f32_e32 v0, v1
	s_mov_b32 s8, 0x2f800000
	v_mul_f32_e64 v1, |v0|, s8
	v_floor_f32_e32 v1, v1
	s_mov_b32 s8, 0xcf800000
	v_fma_f32 v1, v1, s8, |v0|
	v_cvt_u32_f32_e32 v1, v1
	v_ashrrev_i32_e32 v0, 31, v0
	v_xor_b32_e32 v1, v1, v0
	v_sub_u32_e32 v0, v1, v0
	s_waitcnt vmcnt(0)
	global_store_byte v[3:4], v0, off
.LBB15_1093:
	s_or_b64 exec, exec, s[0:1]
	s_and_b64 s[28:29], s[2:3], exec
                                        ; implicit-def: $vgpr14
                                        ; implicit-def: $vgpr8
.LBB15_1094:
	s_or_saveexec_b64 s[30:31], s[42:43]
	s_mov_b64 s[0:1], 0
                                        ; implicit-def: $vgpr3_vgpr4
                                        ; implicit-def: $sgpr14
                                        ; implicit-def: $vgpr1
	s_xor_b64 exec, exec, s[30:31]
	s_cbranch_execz .LBB15_1752
; %bb.1095:
	v_cndmask_b32_e64 v0, 0, 1, s[40:41]
	v_cmp_ne_u32_e64 s[0:1], 1, v0
	s_andn2_b64 vcc, exec, s[40:41]
	s_cbranch_vccnz .LBB15_1101
; %bb.1096:
	s_cmp_lg_u32 s33, 0
	s_mov_b32 s36, 0
	s_cbranch_scc0 .LBB15_1102
; %bb.1097:
	s_min_u32 s37, s74, 15
	s_add_i32 s37, s37, 1
	s_cmp_eq_u32 s74, 2
	s_cbranch_scc1 .LBB15_1103
; %bb.1098:
	s_and_b32 s36, s37, 28
	s_add_u32 s2, s34, 0xc4
	s_addc_u32 s3, s35, 0
	v_mov_b32_e32 v12, 0
	s_mov_b32 s38, 0
	s_mov_b64 s[6:7], s[34:35]
	v_mov_b32_e32 v6, 0
	v_mov_b32_e32 v0, v8
.LBB15_1099:                            ; =>This Inner Loop Header: Depth=1
	s_load_dwordx8 s[16:23], s[6:7], 0x4
	s_load_dwordx4 s[24:27], s[6:7], 0x24
	s_load_dwordx8 s[8:15], s[2:3], 0x0
	s_add_u32 s6, s6, 48
	s_addc_u32 s7, s7, 0
	s_waitcnt lgkmcnt(0)
	v_mul_hi_u32 v1, s17, v0
	s_add_i32 s38, s38, 4
	s_add_u32 s2, s2, 32
	s_addc_u32 s3, s3, 0
	v_add_u32_e32 v1, v0, v1
	v_lshrrev_b32_e32 v1, s18, v1
	v_mul_lo_u32 v2, v1, s16
	s_waitcnt vmcnt(0)
	v_mul_hi_u32 v3, s20, v1
	s_cmp_lg_u32 s36, s38
	v_sub_u32_e32 v0, v0, v2
	v_add_u32_e32 v2, v1, v3
	v_mul_lo_u32 v3, v0, s8
	v_mul_lo_u32 v4, v0, s9
	v_lshrrev_b32_e32 v0, s21, v2
	v_mul_lo_u32 v2, v0, s19
	v_mul_hi_u32 v5, s23, v0
	v_sub_u32_e32 v1, v1, v2
	v_add_u32_e32 v2, v0, v5
	v_lshrrev_b32_e32 v2, s24, v2
	v_mul_hi_u32 v7, s26, v2
	v_mul_lo_u32 v9, v2, s22
	v_mul_lo_u32 v5, v1, s10
	;; [unrolled: 1-line block ×3, first 2 shown]
	v_sub_u32_e32 v9, v0, v9
	v_add_u32_e32 v0, v2, v7
	v_lshrrev_b32_e32 v0, s27, v0
	v_mul_lo_u32 v7, v0, s25
	v_mul_lo_u32 v10, v9, s12
	;; [unrolled: 1-line block ×3, first 2 shown]
	v_add3_u32 v3, v3, v6, v5
	v_sub_u32_e32 v2, v2, v7
	v_mul_lo_u32 v7, v2, s14
	v_mul_lo_u32 v2, v2, s15
	v_add3_u32 v1, v4, v12, v1
	v_add3_u32 v6, v10, v3, v7
	;; [unrolled: 1-line block ×3, first 2 shown]
	s_cbranch_scc1 .LBB15_1099
; %bb.1100:
	s_and_b32 s8, s37, 3
	s_cmp_eq_u32 s8, 0
	s_cbranch_scc0 .LBB15_1104
	s_branch .LBB15_1106
.LBB15_1101:
                                        ; implicit-def: $vgpr6
                                        ; implicit-def: $vgpr12
	s_branch .LBB15_1107
.LBB15_1102:
	v_mov_b32_e32 v6, 0
	v_mov_b32_e32 v12, 0
	s_branch .LBB15_1106
.LBB15_1103:
	v_mov_b32_e32 v6, 0
	v_mov_b32_e32 v12, 0
	;; [unrolled: 1-line block ×3, first 2 shown]
	s_and_b32 s8, s37, 3
	s_cmp_eq_u32 s8, 0
	s_cbranch_scc1 .LBB15_1106
.LBB15_1104:
	s_lshl_b32 s2, s36, 3
	s_add_u32 s2, s34, s2
	s_addc_u32 s3, s35, 0
	s_add_u32 s2, s2, 0xc4
	s_addc_u32 s3, s3, 0
	s_mul_i32 s6, s36, 12
	s_add_u32 s6, s34, s6
	s_addc_u32 s7, s35, 0
.LBB15_1105:                            ; =>This Inner Loop Header: Depth=1
	s_load_dwordx2 s[10:11], s[6:7], 0x4
	s_load_dword s9, s[6:7], 0xc
	s_load_dwordx2 s[12:13], s[2:3], 0x0
	s_add_u32 s6, s6, 12
	s_addc_u32 s7, s7, 0
	s_waitcnt lgkmcnt(0)
	v_mul_hi_u32 v1, s11, v0
	s_add_u32 s2, s2, 8
	s_addc_u32 s3, s3, 0
	s_add_i32 s8, s8, -1
	v_add_u32_e32 v1, v0, v1
	v_lshrrev_b32_e32 v1, s9, v1
	v_mul_lo_u32 v2, v1, s10
	s_cmp_lg_u32 s8, 0
	v_sub_u32_e32 v0, v0, v2
	v_mad_u64_u32 v[6:7], s[10:11], v0, s12, v[6:7]
	v_mad_u64_u32 v[12:13], s[10:11], v0, s13, v[12:13]
	v_mov_b32_e32 v0, v1
	s_cbranch_scc1 .LBB15_1105
.LBB15_1106:
	s_cbranch_execnz .LBB15_1109
.LBB15_1107:
	s_load_dwordx4 s[8:11], s[34:35], 0x4
	s_load_dwordx2 s[2:3], s[34:35], 0xc4
	s_cmp_lt_u32 s33, 2
	s_waitcnt lgkmcnt(0)
	v_mul_hi_u32 v0, s9, v8
	v_add_u32_e32 v0, v8, v0
	v_lshrrev_b32_e32 v0, s10, v0
	v_mul_lo_u32 v1, v0, s8
	v_sub_u32_e32 v1, v8, v1
	v_mul_lo_u32 v6, v1, s2
	v_mul_lo_u32 v12, v1, s3
	s_cbranch_scc1 .LBB15_1109
; %bb.1108:
	s_load_dwordx4 s[8:11], s[34:35], 0x10
	s_load_dwordx2 s[2:3], s[34:35], 0xcc
	s_waitcnt lgkmcnt(0)
	v_mul_hi_u32 v1, s9, v0
	v_add_u32_e32 v1, v0, v1
	v_lshrrev_b32_e32 v1, s10, v1
	v_mul_lo_u32 v1, v1, s8
	v_sub_u32_e32 v0, v0, v1
	v_mad_u64_u32 v[6:7], s[6:7], v0, s2, v[6:7]
	v_mad_u64_u32 v[12:13], s[2:3], v0, s3, v[12:13]
.LBB15_1109:
	s_and_b64 vcc, exec, s[0:1]
	v_add_u32_e32 v0, 0x80, v8
	s_cbranch_vccnz .LBB15_1115
; %bb.1110:
	s_cmp_lg_u32 s33, 0
	s_mov_b32 s36, 0
	s_cbranch_scc0 .LBB15_1116
; %bb.1111:
	s_min_u32 s37, s74, 15
	s_add_i32 s37, s37, 1
	s_cmp_eq_u32 s74, 2
	s_cbranch_scc1 .LBB15_1117
; %bb.1112:
	s_and_b32 s36, s37, 28
	s_add_u32 s2, s34, 0xc4
	s_addc_u32 s3, s35, 0
	v_mov_b32_e32 v10, 0
	s_mov_b32 s38, 0
	s_mov_b64 s[6:7], s[34:35]
	v_mov_b32_e32 v4, 0
	v_mov_b32_e32 v1, v0
.LBB15_1113:                            ; =>This Inner Loop Header: Depth=1
	s_load_dwordx8 s[16:23], s[6:7], 0x4
	s_load_dwordx4 s[24:27], s[6:7], 0x24
	s_load_dwordx8 s[8:15], s[2:3], 0x0
	s_add_u32 s6, s6, 48
	s_addc_u32 s7, s7, 0
	s_waitcnt lgkmcnt(0)
	v_mul_hi_u32 v2, s17, v1
	s_add_i32 s38, s38, 4
	s_add_u32 s2, s2, 32
	s_addc_u32 s3, s3, 0
	v_add_u32_e32 v2, v1, v2
	v_lshrrev_b32_e32 v2, s18, v2
	s_waitcnt vmcnt(0)
	v_mul_lo_u32 v3, v2, s16
	v_mul_hi_u32 v5, s20, v2
	s_cmp_lg_u32 s36, s38
	v_sub_u32_e32 v1, v1, v3
	v_add_u32_e32 v3, v2, v5
	v_mul_lo_u32 v5, v1, s8
	v_mul_lo_u32 v7, v1, s9
	v_lshrrev_b32_e32 v1, s21, v3
	v_mul_lo_u32 v3, v1, s19
	v_mul_hi_u32 v9, s23, v1
	v_sub_u32_e32 v2, v2, v3
	v_add_u32_e32 v3, v1, v9
	v_lshrrev_b32_e32 v3, s24, v3
	v_mul_hi_u32 v11, s26, v3
	v_mul_lo_u32 v13, v3, s22
	v_mul_lo_u32 v9, v2, s10
	;; [unrolled: 1-line block ×3, first 2 shown]
	v_sub_u32_e32 v13, v1, v13
	v_add_u32_e32 v1, v3, v11
	v_lshrrev_b32_e32 v1, s27, v1
	v_mul_lo_u32 v11, v1, s25
	v_mul_lo_u32 v15, v13, s12
	;; [unrolled: 1-line block ×3, first 2 shown]
	v_add3_u32 v4, v5, v4, v9
	v_sub_u32_e32 v3, v3, v11
	v_mul_lo_u32 v11, v3, s14
	v_mul_lo_u32 v3, v3, s15
	v_add3_u32 v2, v7, v10, v2
	v_add3_u32 v4, v15, v4, v11
	;; [unrolled: 1-line block ×3, first 2 shown]
	s_cbranch_scc1 .LBB15_1113
; %bb.1114:
	s_and_b32 s8, s37, 3
	s_cmp_eq_u32 s8, 0
	s_cbranch_scc0 .LBB15_1118
	s_branch .LBB15_1120
.LBB15_1115:
                                        ; implicit-def: $vgpr4
                                        ; implicit-def: $vgpr10
	s_branch .LBB15_1121
.LBB15_1116:
	v_mov_b32_e32 v4, 0
	v_mov_b32_e32 v10, 0
	s_branch .LBB15_1120
.LBB15_1117:
	v_mov_b32_e32 v4, 0
	v_mov_b32_e32 v10, 0
	;; [unrolled: 1-line block ×3, first 2 shown]
	s_and_b32 s8, s37, 3
	s_cmp_eq_u32 s8, 0
	s_cbranch_scc1 .LBB15_1120
.LBB15_1118:
	s_lshl_b32 s2, s36, 3
	s_add_u32 s2, s34, s2
	s_addc_u32 s3, s35, 0
	s_add_u32 s2, s2, 0xc4
	s_addc_u32 s3, s3, 0
	s_mul_i32 s6, s36, 12
	s_add_u32 s6, s34, s6
	s_addc_u32 s7, s35, 0
.LBB15_1119:                            ; =>This Inner Loop Header: Depth=1
	s_load_dwordx2 s[10:11], s[6:7], 0x4
	s_load_dword s9, s[6:7], 0xc
	s_load_dwordx2 s[12:13], s[2:3], 0x0
	s_add_u32 s6, s6, 12
	s_addc_u32 s7, s7, 0
	s_waitcnt lgkmcnt(0)
	v_mul_hi_u32 v2, s11, v1
	s_add_u32 s2, s2, 8
	s_addc_u32 s3, s3, 0
	s_add_i32 s8, s8, -1
	v_add_u32_e32 v2, v1, v2
	v_lshrrev_b32_e32 v2, s9, v2
	s_waitcnt vmcnt(0)
	v_mul_lo_u32 v3, v2, s10
	s_cmp_lg_u32 s8, 0
	v_sub_u32_e32 v1, v1, v3
	v_mad_u64_u32 v[4:5], s[10:11], v1, s12, v[4:5]
	v_mad_u64_u32 v[10:11], s[10:11], v1, s13, v[10:11]
	v_mov_b32_e32 v1, v2
	s_cbranch_scc1 .LBB15_1119
.LBB15_1120:
	s_cbranch_execnz .LBB15_1123
.LBB15_1121:
	s_load_dwordx4 s[8:11], s[34:35], 0x4
	s_load_dwordx2 s[2:3], s[34:35], 0xc4
	s_cmp_lt_u32 s33, 2
	s_waitcnt lgkmcnt(0)
	v_mul_hi_u32 v1, s9, v0
	v_add_u32_e32 v1, v0, v1
	v_lshrrev_b32_e32 v1, s10, v1
	v_mul_lo_u32 v2, v1, s8
	v_sub_u32_e32 v0, v0, v2
	v_mul_lo_u32 v4, v0, s2
	v_mul_lo_u32 v10, v0, s3
	s_cbranch_scc1 .LBB15_1123
; %bb.1122:
	s_load_dwordx4 s[8:11], s[34:35], 0x10
	s_load_dwordx2 s[2:3], s[34:35], 0xcc
	s_waitcnt lgkmcnt(0)
	v_mul_hi_u32 v0, s9, v1
	v_add_u32_e32 v0, v1, v0
	v_lshrrev_b32_e32 v0, s10, v0
	v_mul_lo_u32 v0, v0, s8
	v_sub_u32_e32 v0, v1, v0
	s_waitcnt vmcnt(0)
	v_mad_u64_u32 v[4:5], s[6:7], v0, s2, v[4:5]
	v_mad_u64_u32 v[10:11], s[2:3], v0, s3, v[10:11]
.LBB15_1123:
	s_and_b64 vcc, exec, s[0:1]
	v_add_u32_e32 v0, 0x100, v8
	s_cbranch_vccnz .LBB15_1129
; %bb.1124:
	s_cmp_lg_u32 s33, 0
	s_mov_b32 s36, 0
	s_cbranch_scc0 .LBB15_1130
; %bb.1125:
	s_min_u32 s37, s74, 15
	s_add_i32 s37, s37, 1
	s_cmp_eq_u32 s74, 2
	s_cbranch_scc1 .LBB15_1131
; %bb.1126:
	s_and_b32 s36, s37, 28
	s_add_u32 s2, s34, 0xc4
	s_addc_u32 s3, s35, 0
	v_mov_b32_e32 v7, 0
	s_mov_b32 s38, 0
	s_mov_b64 s[6:7], s[34:35]
	v_mov_b32_e32 v2, 0
	v_mov_b32_e32 v1, v0
.LBB15_1127:                            ; =>This Inner Loop Header: Depth=1
	s_load_dwordx8 s[16:23], s[6:7], 0x4
	s_load_dwordx4 s[24:27], s[6:7], 0x24
	s_load_dwordx8 s[8:15], s[2:3], 0x0
	s_add_u32 s6, s6, 48
	s_addc_u32 s7, s7, 0
	s_waitcnt vmcnt(0) lgkmcnt(0)
	v_mul_hi_u32 v3, s17, v1
	s_add_i32 s38, s38, 4
	s_add_u32 s2, s2, 32
	s_addc_u32 s3, s3, 0
	v_add_u32_e32 v3, v1, v3
	v_lshrrev_b32_e32 v3, s18, v3
	v_mul_lo_u32 v5, v3, s16
	v_mul_hi_u32 v8, s20, v3
	s_cmp_lg_u32 s36, s38
	v_sub_u32_e32 v1, v1, v5
	v_add_u32_e32 v5, v3, v8
	v_mul_lo_u32 v8, v1, s8
	v_mul_lo_u32 v9, v1, s9
	v_lshrrev_b32_e32 v1, s21, v5
	v_mul_lo_u32 v5, v1, s19
	v_mul_hi_u32 v11, s23, v1
	v_sub_u32_e32 v3, v3, v5
	v_add_u32_e32 v5, v1, v11
	v_lshrrev_b32_e32 v5, s24, v5
	v_mul_hi_u32 v13, s26, v5
	v_mul_lo_u32 v15, v5, s22
	v_mul_lo_u32 v11, v3, s10
	;; [unrolled: 1-line block ×3, first 2 shown]
	v_sub_u32_e32 v15, v1, v15
	v_add_u32_e32 v1, v5, v13
	v_lshrrev_b32_e32 v1, s27, v1
	v_mul_lo_u32 v13, v1, s25
	v_mul_lo_u32 v16, v15, s12
	;; [unrolled: 1-line block ×3, first 2 shown]
	v_add3_u32 v2, v8, v2, v11
	v_sub_u32_e32 v5, v5, v13
	v_mul_lo_u32 v13, v5, s14
	v_mul_lo_u32 v5, v5, s15
	v_add3_u32 v3, v9, v7, v3
	v_add3_u32 v2, v16, v2, v13
	;; [unrolled: 1-line block ×3, first 2 shown]
	s_cbranch_scc1 .LBB15_1127
; %bb.1128:
	s_and_b32 s8, s37, 3
	s_cmp_eq_u32 s8, 0
	s_cbranch_scc0 .LBB15_1132
	s_branch .LBB15_1134
.LBB15_1129:
                                        ; implicit-def: $vgpr2
                                        ; implicit-def: $vgpr7
	s_branch .LBB15_1135
.LBB15_1130:
	v_mov_b32_e32 v2, 0
	v_mov_b32_e32 v7, 0
	s_branch .LBB15_1134
.LBB15_1131:
	v_mov_b32_e32 v2, 0
	v_mov_b32_e32 v7, 0
	;; [unrolled: 1-line block ×3, first 2 shown]
	s_and_b32 s8, s37, 3
	s_cmp_eq_u32 s8, 0
	s_cbranch_scc1 .LBB15_1134
.LBB15_1132:
	s_lshl_b32 s2, s36, 3
	s_add_u32 s2, s34, s2
	s_addc_u32 s3, s35, 0
	s_add_u32 s2, s2, 0xc4
	s_addc_u32 s3, s3, 0
	s_mul_i32 s6, s36, 12
	s_add_u32 s6, s34, s6
	s_addc_u32 s7, s35, 0
.LBB15_1133:                            ; =>This Inner Loop Header: Depth=1
	s_load_dwordx2 s[10:11], s[6:7], 0x4
	s_load_dword s9, s[6:7], 0xc
	s_load_dwordx2 s[12:13], s[2:3], 0x0
	s_add_u32 s6, s6, 12
	s_addc_u32 s7, s7, 0
	s_waitcnt vmcnt(0) lgkmcnt(0)
	v_mul_hi_u32 v3, s11, v1
	s_add_u32 s2, s2, 8
	s_addc_u32 s3, s3, 0
	s_add_i32 s8, s8, -1
	v_add_u32_e32 v3, v1, v3
	v_lshrrev_b32_e32 v5, s9, v3
	v_mul_lo_u32 v3, v5, s10
	s_cmp_lg_u32 s8, 0
	v_sub_u32_e32 v1, v1, v3
	v_mad_u64_u32 v[2:3], s[10:11], v1, s12, v[2:3]
	v_mad_u64_u32 v[7:8], s[10:11], v1, s13, v[7:8]
	v_mov_b32_e32 v1, v5
	s_cbranch_scc1 .LBB15_1133
.LBB15_1134:
	s_cbranch_execnz .LBB15_1137
.LBB15_1135:
	s_load_dwordx4 s[8:11], s[34:35], 0x4
	s_load_dwordx2 s[2:3], s[34:35], 0xc4
	s_cmp_lt_u32 s33, 2
	s_waitcnt lgkmcnt(0)
	v_mul_hi_u32 v1, s9, v0
	v_add_u32_e32 v1, v0, v1
	v_lshrrev_b32_e32 v1, s10, v1
	v_mul_lo_u32 v2, v1, s8
	v_sub_u32_e32 v0, v0, v2
	v_mul_lo_u32 v2, v0, s2
	v_mul_lo_u32 v7, v0, s3
	s_cbranch_scc1 .LBB15_1137
; %bb.1136:
	s_load_dwordx4 s[8:11], s[34:35], 0x10
	s_load_dwordx2 s[2:3], s[34:35], 0xcc
	s_waitcnt lgkmcnt(0)
	v_mul_hi_u32 v0, s9, v1
	v_add_u32_e32 v0, v1, v0
	v_lshrrev_b32_e32 v0, s10, v0
	v_mul_lo_u32 v0, v0, s8
	v_sub_u32_e32 v0, v1, v0
	s_waitcnt vmcnt(0)
	v_mad_u64_u32 v[2:3], s[6:7], v0, s2, v[2:3]
	v_mad_u64_u32 v[7:8], s[2:3], v0, s3, v[7:8]
.LBB15_1137:
	s_and_b64 vcc, exec, s[0:1]
	s_cbranch_vccnz .LBB15_1143
; %bb.1138:
	s_cmp_lg_u32 s33, 0
	s_mov_b32 s26, 0
	s_cbranch_scc0 .LBB15_1144
; %bb.1139:
	s_min_u32 s27, s74, 15
	s_add_i32 s27, s27, 1
	s_cmp_eq_u32 s74, 2
	s_cbranch_scc1 .LBB15_1145
; %bb.1140:
	s_and_b32 s26, s27, 28
	s_add_u32 s6, s34, 0xc4
	s_addc_u32 s7, s35, 0
	v_mov_b32_e32 v8, 0
	s_mov_b32 s36, 0
	s_mov_b64 s[24:25], s[34:35]
	v_mov_b32_e32 v0, 0
	v_mov_b32_e32 v1, v14
.LBB15_1141:                            ; =>This Inner Loop Header: Depth=1
	s_load_dwordx8 s[16:23], s[24:25], 0x4
	s_load_dwordx4 s[0:3], s[24:25], 0x24
	s_load_dwordx8 s[8:15], s[6:7], 0x0
	s_add_u32 s24, s24, 48
	s_addc_u32 s25, s25, 0
	s_waitcnt vmcnt(0) lgkmcnt(0)
	v_mul_hi_u32 v3, s17, v1
	s_add_i32 s36, s36, 4
	s_add_u32 s6, s6, 32
	s_addc_u32 s7, s7, 0
	v_add_u32_e32 v3, v1, v3
	v_lshrrev_b32_e32 v3, s18, v3
	v_mul_lo_u32 v5, v3, s16
	v_mul_hi_u32 v9, s20, v3
	s_cmp_lg_u32 s26, s36
	v_sub_u32_e32 v1, v1, v5
	v_add_u32_e32 v5, v3, v9
	v_mul_lo_u32 v9, v1, s8
	v_mul_lo_u32 v11, v1, s9
	v_lshrrev_b32_e32 v1, s21, v5
	v_mul_lo_u32 v5, v1, s19
	v_mul_hi_u32 v13, s23, v1
	v_sub_u32_e32 v3, v3, v5
	v_add_u32_e32 v5, v1, v13
	v_lshrrev_b32_e32 v5, s0, v5
	v_mul_hi_u32 v15, s2, v5
	v_mul_lo_u32 v16, v5, s22
	v_mul_lo_u32 v13, v3, s10
	;; [unrolled: 1-line block ×3, first 2 shown]
	v_sub_u32_e32 v16, v1, v16
	v_add_u32_e32 v1, v5, v15
	v_lshrrev_b32_e32 v1, s3, v1
	v_mul_lo_u32 v15, v1, s1
	v_mul_lo_u32 v17, v16, s12
	;; [unrolled: 1-line block ×3, first 2 shown]
	v_add3_u32 v0, v9, v0, v13
	v_sub_u32_e32 v5, v5, v15
	v_mul_lo_u32 v15, v5, s14
	v_mul_lo_u32 v5, v5, s15
	v_add3_u32 v3, v11, v8, v3
	v_add3_u32 v0, v17, v0, v15
	;; [unrolled: 1-line block ×3, first 2 shown]
	s_cbranch_scc1 .LBB15_1141
; %bb.1142:
	s_and_b32 s6, s27, 3
	s_cmp_eq_u32 s6, 0
	s_cbranch_scc0 .LBB15_1146
	s_branch .LBB15_1148
.LBB15_1143:
                                        ; implicit-def: $vgpr0
                                        ; implicit-def: $vgpr8
	s_branch .LBB15_1149
.LBB15_1144:
	v_mov_b32_e32 v0, 0
	v_mov_b32_e32 v8, 0
	s_branch .LBB15_1148
.LBB15_1145:
	v_mov_b32_e32 v0, 0
	v_mov_b32_e32 v8, 0
	;; [unrolled: 1-line block ×3, first 2 shown]
	s_and_b32 s6, s27, 3
	s_cmp_eq_u32 s6, 0
	s_cbranch_scc1 .LBB15_1148
.LBB15_1146:
	s_lshl_b32 s0, s26, 3
	s_add_u32 s0, s34, s0
	s_addc_u32 s1, s35, 0
	s_add_u32 s0, s0, 0xc4
	s_addc_u32 s1, s1, 0
	s_mul_i32 s2, s26, 12
	s_add_u32 s2, s34, s2
	s_addc_u32 s3, s35, 0
.LBB15_1147:                            ; =>This Inner Loop Header: Depth=1
	s_load_dwordx2 s[8:9], s[2:3], 0x4
	s_load_dword s7, s[2:3], 0xc
	s_load_dwordx2 s[10:11], s[0:1], 0x0
	s_add_u32 s2, s2, 12
	s_addc_u32 s3, s3, 0
	s_waitcnt vmcnt(0) lgkmcnt(0)
	v_mul_hi_u32 v3, s9, v1
	s_add_u32 s0, s0, 8
	s_addc_u32 s1, s1, 0
	s_add_i32 s6, s6, -1
	v_add_u32_e32 v3, v1, v3
	v_lshrrev_b32_e32 v3, s7, v3
	v_mul_lo_u32 v5, v3, s8
	s_cmp_lg_u32 s6, 0
	v_sub_u32_e32 v5, v1, v5
	v_mad_u64_u32 v[0:1], s[8:9], v5, s10, v[0:1]
	v_mad_u64_u32 v[8:9], s[8:9], v5, s11, v[8:9]
	v_mov_b32_e32 v1, v3
	s_cbranch_scc1 .LBB15_1147
.LBB15_1148:
	s_cbranch_execnz .LBB15_1151
.LBB15_1149:
	s_load_dwordx4 s[0:3], s[34:35], 0x4
	s_load_dwordx2 s[6:7], s[34:35], 0xc4
	s_cmp_lt_u32 s33, 2
	s_waitcnt lgkmcnt(0)
	v_mul_hi_u32 v0, s1, v14
	v_add_u32_e32 v0, v14, v0
	v_lshrrev_b32_e32 v1, s2, v0
	v_mul_lo_u32 v0, v1, s0
	s_waitcnt vmcnt(0)
	v_sub_u32_e32 v3, v14, v0
	v_mul_lo_u32 v0, v3, s6
	v_mul_lo_u32 v8, v3, s7
	s_cbranch_scc1 .LBB15_1151
; %bb.1150:
	s_load_dwordx4 s[0:3], s[34:35], 0x10
	s_load_dwordx2 s[6:7], s[34:35], 0xcc
	s_waitcnt lgkmcnt(0)
	v_mul_hi_u32 v3, s1, v1
	v_add_u32_e32 v3, v1, v3
	v_lshrrev_b32_e32 v3, s2, v3
	v_mul_lo_u32 v3, v3, s0
	v_sub_u32_e32 v3, v1, v3
	v_mad_u64_u32 v[0:1], s[0:1], v3, s6, v[0:1]
	v_mad_u64_u32 v[8:9], s[0:1], v3, s7, v[8:9]
.LBB15_1151:
	s_load_dwordx4 s[8:11], s[34:35], 0x148
	s_load_dword s14, s[4:5], 0x164
	s_waitcnt lgkmcnt(0)
	v_mov_b32_e32 v1, s11
	s_bfe_u32 s15, s14, 0x80008
	v_add_co_u32_e32 v11, vcc, s10, v12
	s_cmp_lt_i32 s15, 11
	v_addc_co_u32_e32 v12, vcc, 0, v1, vcc
	s_cbranch_scc1 .LBB15_1158
; %bb.1152:
	s_and_b32 s16, 0xffff, s15
	s_cmp_gt_i32 s16, 25
	s_mov_b64 s[4:5], 0
	s_cbranch_scc0 .LBB15_1160
; %bb.1153:
	s_cmp_gt_i32 s16, 28
	s_cbranch_scc0 .LBB15_1161
; %bb.1154:
	s_cmp_gt_i32 s16, 43
	;; [unrolled: 3-line block ×3, first 2 shown]
	s_cbranch_scc0 .LBB15_1163
; %bb.1156:
	s_cmp_eq_u32 s16, 46
	s_mov_b64 s[2:3], 0
	s_cbranch_scc0 .LBB15_1166
; %bb.1157:
	global_load_dword v1, v[11:12], off
	s_mov_b64 s[0:1], 0
	s_mov_b64 s[6:7], -1
	s_waitcnt vmcnt(0)
	v_lshlrev_b32_e32 v1, 16, v1
	s_branch .LBB15_1167
.LBB15_1158:
	s_mov_b64 s[6:7], 0
                                        ; implicit-def: $vgpr1
	s_mov_b64 s[2:3], s[28:29]
	s_cbranch_execnz .LBB15_1230
.LBB15_1159:
	s_andn2_b64 vcc, exec, s[6:7]
	s_cbranch_vccz .LBB15_1275
	s_branch .LBB15_1749
.LBB15_1160:
	s_mov_b64 s[6:7], 0
	s_mov_b64 s[0:1], 0
                                        ; implicit-def: $vgpr1
	s_cbranch_execnz .LBB15_1195
	s_branch .LBB15_1226
.LBB15_1161:
	s_mov_b64 s[2:3], -1
	s_mov_b64 s[6:7], 0
	s_mov_b64 s[0:1], 0
                                        ; implicit-def: $vgpr1
	s_branch .LBB15_1176
.LBB15_1162:
	s_mov_b64 s[6:7], 0
	s_mov_b64 s[0:1], 0
                                        ; implicit-def: $vgpr1
	s_cbranch_execnz .LBB15_1172
	s_branch .LBB15_1175
.LBB15_1163:
	s_mov_b64 s[2:3], -1
	s_mov_b64 s[6:7], 0
	s_mov_b64 s[0:1], 0
                                        ; implicit-def: $vgpr1
	s_branch .LBB15_1167
.LBB15_1164:
	s_andn2_saveexec_b64 s[14:15], s[14:15]
	s_cbranch_execz .LBB15_1007
.LBB15_1165:
	s_mov_b32 s16, 0x46000000
	v_add_f32_e64 v0, |v1|, s16
	v_and_b32_e32 v0, 0xff, v0
	v_cmp_ne_u32_e32 vcc, 0, v0
	s_andn2_b64 s[12:13], s[12:13], exec
	s_and_b64 s[16:17], vcc, exec
	s_or_b64 s[12:13], s[12:13], s[16:17]
	s_or_b64 exec, exec, s[14:15]
	v_mov_b32_e32 v2, 0
	s_and_saveexec_b64 s[14:15], s[12:13]
	s_cbranch_execnz .LBB15_1008
	s_branch .LBB15_1009
.LBB15_1166:
	s_mov_b64 s[0:1], -1
                                        ; implicit-def: $vgpr1
	s_mov_b64 s[6:7], 0
.LBB15_1167:
	s_and_b64 vcc, exec, s[2:3]
	s_cbranch_vccz .LBB15_1170
; %bb.1168:
	s_cmp_eq_u32 s16, 44
	s_cbranch_scc0 .LBB15_1171
; %bb.1169:
	global_load_ubyte v1, v[11:12], off
	s_movk_i32 s2, 0xff
	s_waitcnt vmcnt(1)
	v_mov_b32_e32 v3, 0x7f800001
	v_mov_b32_e32 v5, 0x400000
	s_mov_b64 s[0:1], 0
	s_mov_b64 s[6:7], -1
	s_waitcnt vmcnt(0)
	v_lshlrev_b32_e32 v9, 23, v1
	v_cmp_ne_u32_e32 vcc, s2, v1
	v_cndmask_b32_e32 v3, v3, v9, vcc
	v_cmp_ne_u32_e32 vcc, 0, v1
	v_cndmask_b32_e32 v1, v5, v3, vcc
.LBB15_1170:
	s_branch .LBB15_1175
.LBB15_1171:
	s_mov_b64 s[0:1], -1
                                        ; implicit-def: $vgpr1
	s_branch .LBB15_1175
.LBB15_1172:
	s_cmp_eq_u32 s16, 29
	s_cbranch_scc0 .LBB15_1174
; %bb.1173:
	global_load_dwordx2 v[13:14], v[11:12], off
	s_mov_b64 s[0:1], 0
	s_mov_b64 s[6:7], -1
	s_mov_b64 s[2:3], 0
	s_waitcnt vmcnt(0)
	v_ffbh_u32_e32 v1, v14
	v_min_u32_e32 v1, 32, v1
	v_lshlrev_b64 v[13:14], v1, v[13:14]
	v_sub_u32_e32 v1, 32, v1
	v_min_u32_e32 v3, 1, v13
	v_or_b32_e32 v3, v14, v3
	v_cvt_f32_u32_e32 v3, v3
	v_ldexp_f32 v1, v3, v1
	s_branch .LBB15_1176
.LBB15_1174:
	s_mov_b64 s[0:1], -1
                                        ; implicit-def: $vgpr1
.LBB15_1175:
	s_mov_b64 s[2:3], 0
.LBB15_1176:
	s_and_b64 vcc, exec, s[2:3]
	s_cbranch_vccz .LBB15_1194
; %bb.1177:
	s_cmp_lt_i32 s16, 27
	s_cbranch_scc1 .LBB15_1180
; %bb.1178:
	s_cmp_gt_i32 s16, 27
	s_cbranch_scc0 .LBB15_1181
; %bb.1179:
	global_load_dword v1, v[11:12], off
	s_mov_b64 s[2:3], 0
	s_waitcnt vmcnt(0)
	v_cvt_f32_u32_e32 v1, v1
	s_branch .LBB15_1182
.LBB15_1180:
	s_mov_b64 s[2:3], -1
                                        ; implicit-def: $vgpr1
	s_branch .LBB15_1185
.LBB15_1181:
	s_mov_b64 s[2:3], -1
                                        ; implicit-def: $vgpr1
.LBB15_1182:
	s_andn2_b64 vcc, exec, s[2:3]
	s_cbranch_vccnz .LBB15_1184
; %bb.1183:
	global_load_ushort v1, v[11:12], off
	s_waitcnt vmcnt(0)
	v_cvt_f32_u32_e32 v1, v1
.LBB15_1184:
	s_mov_b64 s[2:3], 0
.LBB15_1185:
	s_andn2_b64 vcc, exec, s[2:3]
	s_cbranch_vccnz .LBB15_1193
; %bb.1186:
	global_load_ubyte v3, v[11:12], off
	s_movk_i32 s2, 0x7f
	s_waitcnt vmcnt(0)
	v_cmp_lt_i16_e32 vcc, s2, v3
	s_mov_b64 s[2:3], 0
	s_and_saveexec_b64 s[6:7], vcc
	s_xor_b64 s[6:7], exec, s[6:7]
	s_cbranch_execz .LBB15_1206
; %bb.1187:
	s_movk_i32 s2, 0x80
	v_cmp_eq_u16_e32 vcc, s2, v3
	s_mov_b64 s[2:3], -1
	s_and_saveexec_b64 s[12:13], vcc
; %bb.1188:
	s_xor_b64 s[2:3], exec, -1
; %bb.1189:
	s_or_b64 exec, exec, s[12:13]
	s_and_b64 s[2:3], s[2:3], exec
	s_or_saveexec_b64 s[6:7], s[6:7]
	v_mov_b32_e32 v1, 0x7f800001
	s_xor_b64 exec, exec, s[6:7]
	s_cbranch_execnz .LBB15_1207
.LBB15_1190:
	s_or_b64 exec, exec, s[6:7]
	s_and_saveexec_b64 s[6:7], s[2:3]
	s_cbranch_execz .LBB15_1192
.LBB15_1191:
	v_lshlrev_b32_e32 v1, 24, v3
	v_and_b32_e32 v3, 0xffff, v3
	v_and_b32_e32 v5, 7, v3
	v_ffbh_u32_e32 v13, v5
	v_min_u32_e32 v13, 32, v13
	v_subrev_u32_e32 v14, 28, v13
	v_bfe_u32 v9, v3, 3, 4
	v_lshlrev_b32_e32 v3, v14, v3
	v_sub_u32_e32 v13, 29, v13
	v_and_b32_e32 v3, 7, v3
	v_cmp_eq_u32_e32 vcc, 0, v9
	v_cndmask_b32_e32 v9, v9, v13, vcc
	v_cndmask_b32_e32 v3, v5, v3, vcc
	v_mov_b32_e32 v5, 0x3b800000
	v_lshlrev_b32_e32 v3, 20, v3
	v_and_b32_e32 v1, 0x80000000, v1
	v_lshl_add_u32 v5, v9, 23, v5
	v_or3_b32 v1, v1, v5, v3
.LBB15_1192:
	s_or_b64 exec, exec, s[6:7]
.LBB15_1193:
	s_mov_b64 s[6:7], -1
.LBB15_1194:
	s_branch .LBB15_1226
.LBB15_1195:
	s_cmp_gt_i32 s16, 22
	s_cbranch_scc0 .LBB15_1205
; %bb.1196:
	s_cmp_lt_i32 s16, 24
	s_cbranch_scc1 .LBB15_1208
; %bb.1197:
	s_cmp_gt_i32 s16, 24
	s_cbranch_scc0 .LBB15_1209
; %bb.1198:
	global_load_ubyte v3, v[11:12], off
	s_movk_i32 s2, 0x7f
	s_waitcnt vmcnt(0)
	v_cmp_lt_i16_e32 vcc, s2, v3
	s_mov_b64 s[2:3], 0
	s_and_saveexec_b64 s[4:5], vcc
	s_xor_b64 s[4:5], exec, s[4:5]
	s_cbranch_execz .LBB15_1220
; %bb.1199:
	s_movk_i32 s2, 0x80
	v_cmp_eq_u16_e32 vcc, s2, v3
	s_mov_b64 s[2:3], -1
	s_and_saveexec_b64 s[6:7], vcc
; %bb.1200:
	s_xor_b64 s[2:3], exec, -1
; %bb.1201:
	s_or_b64 exec, exec, s[6:7]
	s_and_b64 s[2:3], s[2:3], exec
	s_or_saveexec_b64 s[4:5], s[4:5]
	v_mov_b32_e32 v1, 0x7f800001
	s_xor_b64 exec, exec, s[4:5]
	s_cbranch_execnz .LBB15_1221
.LBB15_1202:
	s_or_b64 exec, exec, s[4:5]
	s_and_saveexec_b64 s[4:5], s[2:3]
	s_cbranch_execz .LBB15_1204
.LBB15_1203:
	v_lshlrev_b32_e32 v1, 24, v3
	v_and_b32_e32 v3, 0xffff, v3
	v_and_b32_e32 v5, 3, v3
	v_ffbh_u32_e32 v13, v5
	v_min_u32_e32 v13, 32, v13
	v_subrev_u32_e32 v14, 29, v13
	v_bfe_u32 v9, v3, 2, 5
	v_lshlrev_b32_e32 v3, v14, v3
	v_sub_u32_e32 v13, 30, v13
	v_and_b32_e32 v3, 3, v3
	v_cmp_eq_u32_e32 vcc, 0, v9
	v_cndmask_b32_e32 v9, v9, v13, vcc
	v_cndmask_b32_e32 v3, v5, v3, vcc
	v_mov_b32_e32 v5, 0x37800000
	v_lshlrev_b32_e32 v3, 21, v3
	v_and_b32_e32 v1, 0x80000000, v1
	v_lshl_add_u32 v5, v9, 23, v5
	v_or3_b32 v1, v1, v5, v3
.LBB15_1204:
	s_or_b64 exec, exec, s[4:5]
	s_mov_b64 s[2:3], 0
	s_branch .LBB15_1210
.LBB15_1205:
                                        ; implicit-def: $vgpr1
	s_mov_b64 s[4:5], 0
	s_branch .LBB15_1216
.LBB15_1206:
	s_or_saveexec_b64 s[6:7], s[6:7]
	v_mov_b32_e32 v1, 0x7f800001
	s_xor_b64 exec, exec, s[6:7]
	s_cbranch_execz .LBB15_1190
.LBB15_1207:
	v_cmp_ne_u16_e32 vcc, 0, v3
	s_andn2_b64 s[2:3], s[2:3], exec
	s_and_b64 s[12:13], vcc, exec
	v_mov_b32_e32 v1, 0
	s_or_b64 s[2:3], s[2:3], s[12:13]
	s_or_b64 exec, exec, s[6:7]
	s_and_saveexec_b64 s[6:7], s[2:3]
	s_cbranch_execnz .LBB15_1191
	s_branch .LBB15_1192
.LBB15_1208:
	s_mov_b64 s[2:3], -1
                                        ; implicit-def: $vgpr1
	s_branch .LBB15_1213
.LBB15_1209:
	s_mov_b64 s[2:3], -1
                                        ; implicit-def: $vgpr1
.LBB15_1210:
	s_and_b64 vcc, exec, s[2:3]
	s_cbranch_vccz .LBB15_1212
; %bb.1211:
	global_load_ubyte v1, v[11:12], off
	s_mov_b32 s2, 0x7f800000
	s_waitcnt vmcnt(0)
	v_lshlrev_b32_e32 v1, 24, v1
	v_and_b32_e32 v3, 0x7f000000, v1
	v_ffbh_u32_e32 v5, v3
	v_min_u32_e32 v5, 32, v5
	v_sub_u32_e64 v5, v5, 4 clamp
	v_lshlrev_b32_e32 v13, v5, v3
	v_lshlrev_b32_e32 v5, 23, v5
	v_lshrrev_b32_e32 v13, 4, v13
	v_add_u32_e32 v9, 0x1000000, v3
	v_sub_u32_e32 v5, v13, v5
	v_ashrrev_i32_e32 v9, 8, v9
	v_add_u32_e32 v5, 0x3c000000, v5
	v_and_or_b32 v5, v9, s2, v5
	v_cmp_ne_u32_e32 vcc, 0, v3
	v_cndmask_b32_e32 v3, 0, v5, vcc
	s_brev_b32 s2, 1
	v_and_or_b32 v1, v1, s2, v3
.LBB15_1212:
	s_mov_b64 s[2:3], 0
.LBB15_1213:
	s_andn2_b64 vcc, exec, s[2:3]
	s_cbranch_vccnz .LBB15_1215
; %bb.1214:
	global_load_ubyte v1, v[11:12], off
	s_movk_i32 s2, 0x7f00
	s_brev_b32 s3, 16
	s_waitcnt vmcnt(0)
	v_lshlrev_b16_e32 v3, 8, v1
	v_lshlrev_b32_e32 v1, 25, v1
	v_lshrrev_b32_e32 v5, 4, v1
	v_and_or_b32 v9, v3, s2, 0.5
	v_or_b32_e32 v5, 0x70000000, v5
	v_add_f32_e32 v9, -0.5, v9
	v_mul_f32_e32 v5, 0x7800000, v5
	v_cmp_gt_u32_e32 vcc, s3, v1
	v_bfe_i32 v3, v3, 0, 16
	v_cndmask_b32_e32 v1, v5, v9, vcc
	s_brev_b32 s2, 1
	v_and_or_b32 v1, v3, s2, v1
.LBB15_1215:
	s_mov_b64 s[6:7], -1
	s_mov_b64 s[4:5], 0
	s_cbranch_execnz .LBB15_1226
.LBB15_1216:
	s_cmp_gt_i32 s16, 14
	s_cbranch_scc0 .LBB15_1219
; %bb.1217:
	s_cmp_eq_u32 s16, 15
	s_cbranch_scc0 .LBB15_1222
; %bb.1218:
	global_load_ushort v1, v[11:12], off
	s_mov_b64 s[0:1], 0
	s_mov_b64 s[6:7], -1
	s_waitcnt vmcnt(0)
	v_lshlrev_b32_e32 v1, 16, v1
	s_branch .LBB15_1223
.LBB15_1219:
	s_mov_b64 s[2:3], -1
                                        ; implicit-def: $vgpr1
	s_branch .LBB15_1224
.LBB15_1220:
	s_or_saveexec_b64 s[4:5], s[4:5]
	v_mov_b32_e32 v1, 0x7f800001
	s_xor_b64 exec, exec, s[4:5]
	s_cbranch_execz .LBB15_1202
.LBB15_1221:
	v_cmp_ne_u16_e32 vcc, 0, v3
	s_andn2_b64 s[2:3], s[2:3], exec
	s_and_b64 s[6:7], vcc, exec
	v_mov_b32_e32 v1, 0
	s_or_b64 s[2:3], s[2:3], s[6:7]
	s_or_b64 exec, exec, s[4:5]
	s_and_saveexec_b64 s[4:5], s[2:3]
	s_cbranch_execnz .LBB15_1203
	s_branch .LBB15_1204
.LBB15_1222:
	s_mov_b64 s[0:1], -1
                                        ; implicit-def: $vgpr1
.LBB15_1223:
	s_mov_b64 s[2:3], 0
.LBB15_1224:
	s_and_b64 vcc, exec, s[2:3]
	s_cbranch_vccz .LBB15_1226
; %bb.1225:
	s_cmp_lg_u32 s16, 11
	s_mov_b64 s[4:5], -1
	s_cselect_b64 s[0:1], -1, 0
.LBB15_1226:
	s_and_b64 vcc, exec, s[0:1]
	s_mov_b64 s[2:3], s[28:29]
	s_cbranch_vccnz .LBB15_1289
; %bb.1227:
	s_andn2_b64 vcc, exec, s[4:5]
	s_cbranch_vccnz .LBB15_1229
.LBB15_1228:
	global_load_ubyte v1, v[11:12], off
	s_mov_b64 s[6:7], -1
	s_waitcnt vmcnt(0)
	v_cmp_ne_u16_e32 vcc, 0, v1
	v_cndmask_b32_e64 v1, 0, 1.0, vcc
.LBB15_1229:
	s_branch .LBB15_1159
.LBB15_1230:
	s_and_b32 s4, 0xffff, s15
	s_cmp_lt_i32 s4, 5
	s_cbranch_scc1 .LBB15_1235
; %bb.1231:
	s_cmp_lt_i32 s4, 8
	s_cbranch_scc1 .LBB15_1236
; %bb.1232:
	;; [unrolled: 3-line block ×3, first 2 shown]
	s_cmp_gt_i32 s4, 9
	s_cbranch_scc0 .LBB15_1238
; %bb.1234:
	global_load_dwordx2 v[13:14], v[11:12], off
	s_mov_b64 s[0:1], 0
	s_waitcnt vmcnt(0)
	v_cvt_f32_f64_e32 v1, v[13:14]
	s_branch .LBB15_1239
.LBB15_1235:
                                        ; implicit-def: $vgpr1
	s_branch .LBB15_1256
.LBB15_1236:
                                        ; implicit-def: $vgpr1
	s_branch .LBB15_1245
.LBB15_1237:
	s_mov_b64 s[0:1], -1
                                        ; implicit-def: $vgpr1
	s_branch .LBB15_1242
.LBB15_1238:
	s_mov_b64 s[0:1], -1
                                        ; implicit-def: $vgpr1
.LBB15_1239:
	s_andn2_b64 vcc, exec, s[0:1]
	s_cbranch_vccnz .LBB15_1241
; %bb.1240:
	global_load_dword v1, v[11:12], off
.LBB15_1241:
	s_mov_b64 s[0:1], 0
.LBB15_1242:
	s_andn2_b64 vcc, exec, s[0:1]
	s_cbranch_vccnz .LBB15_1244
; %bb.1243:
	global_load_dword v1, v[11:12], off
	s_waitcnt vmcnt(0)
	v_cvt_f32_f16_e32 v1, v1
.LBB15_1244:
	s_cbranch_execnz .LBB15_1255
.LBB15_1245:
	s_cmp_lt_i32 s4, 6
	s_cbranch_scc1 .LBB15_1248
; %bb.1246:
	s_cmp_gt_i32 s4, 6
	s_cbranch_scc0 .LBB15_1249
; %bb.1247:
	global_load_dwordx2 v[13:14], v[11:12], off
	s_mov_b64 s[0:1], 0
	s_waitcnt vmcnt(0)
	v_cvt_f32_f64_e32 v1, v[13:14]
	s_branch .LBB15_1250
.LBB15_1248:
	s_mov_b64 s[0:1], -1
                                        ; implicit-def: $vgpr1
	s_branch .LBB15_1253
.LBB15_1249:
	s_mov_b64 s[0:1], -1
                                        ; implicit-def: $vgpr1
.LBB15_1250:
	s_andn2_b64 vcc, exec, s[0:1]
	s_cbranch_vccnz .LBB15_1252
; %bb.1251:
	global_load_dword v1, v[11:12], off
.LBB15_1252:
	s_mov_b64 s[0:1], 0
.LBB15_1253:
	s_andn2_b64 vcc, exec, s[0:1]
	s_cbranch_vccnz .LBB15_1255
; %bb.1254:
	global_load_ushort v1, v[11:12], off
	s_waitcnt vmcnt(0)
	v_cvt_f32_f16_e32 v1, v1
.LBB15_1255:
	s_cbranch_execnz .LBB15_1274
.LBB15_1256:
	s_cmp_lt_i32 s4, 2
	s_cbranch_scc1 .LBB15_1260
; %bb.1257:
	s_cmp_lt_i32 s4, 3
	s_cbranch_scc1 .LBB15_1261
; %bb.1258:
	s_cmp_gt_i32 s4, 3
	s_cbranch_scc0 .LBB15_1262
; %bb.1259:
	global_load_dwordx2 v[13:14], v[11:12], off
	s_mov_b64 s[0:1], 0
	s_waitcnt vmcnt(0)
	v_xor_b32_e32 v3, v13, v14
	v_ffbh_i32_e32 v1, v14
	v_ashrrev_i32_e32 v3, 31, v3
	v_add_u32_e32 v1, -1, v1
	v_add_u32_e32 v3, 32, v3
	v_min_u32_e32 v1, v1, v3
	v_lshlrev_b64 v[13:14], v1, v[13:14]
	v_sub_u32_e32 v1, 32, v1
	v_min_u32_e32 v3, 1, v13
	v_or_b32_e32 v3, v14, v3
	v_cvt_f32_i32_e32 v3, v3
	v_ldexp_f32 v1, v3, v1
	s_branch .LBB15_1263
.LBB15_1260:
                                        ; implicit-def: $vgpr1
	s_branch .LBB15_1269
.LBB15_1261:
	s_mov_b64 s[0:1], -1
                                        ; implicit-def: $vgpr1
	s_branch .LBB15_1266
.LBB15_1262:
	s_mov_b64 s[0:1], -1
                                        ; implicit-def: $vgpr1
.LBB15_1263:
	s_andn2_b64 vcc, exec, s[0:1]
	s_cbranch_vccnz .LBB15_1265
; %bb.1264:
	global_load_dword v1, v[11:12], off
	s_waitcnt vmcnt(0)
	v_cvt_f32_i32_e32 v1, v1
.LBB15_1265:
	s_mov_b64 s[0:1], 0
.LBB15_1266:
	s_andn2_b64 vcc, exec, s[0:1]
	s_cbranch_vccnz .LBB15_1268
; %bb.1267:
	global_load_sshort v1, v[11:12], off
	s_waitcnt vmcnt(0)
	v_cvt_f32_i32_e32 v1, v1
.LBB15_1268:
	s_cbranch_execnz .LBB15_1274
.LBB15_1269:
	s_cmp_gt_i32 s4, 0
	s_cbranch_scc0 .LBB15_1271
; %bb.1270:
	global_load_sbyte v1, v[11:12], off
	s_mov_b64 s[0:1], 0
	s_waitcnt vmcnt(0)
	v_cvt_f32_i32_e32 v1, v1
	s_branch .LBB15_1272
.LBB15_1271:
	s_mov_b64 s[0:1], -1
                                        ; implicit-def: $vgpr1
.LBB15_1272:
	s_andn2_b64 vcc, exec, s[0:1]
	s_cbranch_vccnz .LBB15_1274
; %bb.1273:
	global_load_ubyte v1, v[11:12], off
	s_waitcnt vmcnt(0)
	v_cvt_f32_ubyte0_e32 v1, v1
.LBB15_1274:
.LBB15_1275:
	s_load_dword s16, s[34:35], 0x158
	s_waitcnt vmcnt(0)
	v_mov_b32_e32 v5, 1.0
	s_waitcnt lgkmcnt(0)
	v_cmp_lt_f32_e32 vcc, s16, v1
	s_and_saveexec_b64 s[0:1], vcc
	s_cbranch_execz .LBB15_1277
; %bb.1276:
	v_add_f32_e32 v1, 0x33d6bf95, v1
	v_div_scale_f32 v3, s[4:5], v1, v1, s16
	v_div_scale_f32 v5, vcc, s16, v1, s16
	v_rcp_f32_e32 v9, v3
	v_fma_f32 v11, -v3, v9, 1.0
	v_fmac_f32_e32 v9, v11, v9
	v_mul_f32_e32 v11, v5, v9
	v_fma_f32 v12, -v3, v11, v5
	v_fmac_f32_e32 v11, v12, v9
	v_fma_f32 v3, -v3, v11, v5
	v_div_fmas_f32 v3, v3, v9, v11
	v_div_fixup_f32 v5, v3, v1, s16
.LBB15_1277:
	s_or_b64 exec, exec, s[0:1]
	s_lshr_b32 s0, s14, 8
	v_mov_b32_e32 v1, s11
	s_and_b32 s17, s0, 0xff
	v_add_co_u32_e32 v9, vcc, s10, v10
	s_cmp_lt_i32 s17, 11
	v_addc_co_u32_e32 v10, vcc, 0, v1, vcc
	s_cbranch_scc1 .LBB15_1284
; %bb.1278:
	s_and_b32 s18, 0xffff, s17
	s_cmp_gt_i32 s18, 25
	s_mov_b64 s[4:5], 0
	s_cbranch_scc0 .LBB15_1286
; %bb.1279:
	s_cmp_gt_i32 s18, 28
	s_cbranch_scc0 .LBB15_1287
; %bb.1280:
	s_cmp_gt_i32 s18, 43
	;; [unrolled: 3-line block ×3, first 2 shown]
	s_cbranch_scc0 .LBB15_1290
; %bb.1282:
	s_cmp_eq_u32 s18, 46
	s_mov_b64 s[12:13], 0
	s_cbranch_scc0 .LBB15_1293
; %bb.1283:
	global_load_dword v1, v[9:10], off
	s_mov_b64 s[0:1], 0
	s_mov_b64 s[6:7], -1
	s_waitcnt vmcnt(0)
	v_lshlrev_b32_e32 v1, 16, v1
	s_branch .LBB15_1294
.LBB15_1284:
	s_mov_b64 s[6:7], 0
                                        ; implicit-def: $vgpr1
	s_cbranch_execnz .LBB15_1359
.LBB15_1285:
	s_andn2_b64 vcc, exec, s[6:7]
	s_cbranch_vccnz .LBB15_1749
	s_branch .LBB15_1406
.LBB15_1286:
	s_mov_b64 s[6:7], 0
	s_mov_b64 s[0:1], 0
                                        ; implicit-def: $vgpr1
	s_cbranch_execnz .LBB15_1323
	s_branch .LBB15_1355
.LBB15_1287:
	s_mov_b64 s[12:13], -1
	s_mov_b64 s[6:7], 0
	s_mov_b64 s[0:1], 0
                                        ; implicit-def: $vgpr1
	s_branch .LBB15_1304
.LBB15_1288:
	s_mov_b64 s[12:13], -1
	s_mov_b64 s[6:7], 0
	s_mov_b64 s[0:1], 0
                                        ; implicit-def: $vgpr1
	s_branch .LBB15_1299
.LBB15_1289:
	s_or_b64 s[2:3], s[28:29], exec
	s_trap 2
	s_cbranch_execz .LBB15_1228
	s_branch .LBB15_1229
.LBB15_1290:
	s_mov_b64 s[12:13], -1
	s_mov_b64 s[6:7], 0
	s_mov_b64 s[0:1], 0
                                        ; implicit-def: $vgpr1
	s_branch .LBB15_1294
.LBB15_1291:
	s_andn2_saveexec_b64 s[16:17], s[16:17]
	s_cbranch_execz .LBB15_1019
.LBB15_1292:
	s_mov_b32 s20, 0x42800000
	v_add_f32_e64 v0, |v1|, s20
	v_and_b32_e32 v0, 0xff, v0
	v_cmp_ne_u32_e32 vcc, 0, v0
	s_andn2_b64 s[14:15], s[14:15], exec
	s_and_b64 s[20:21], vcc, exec
	s_or_b64 s[14:15], s[14:15], s[20:21]
	s_or_b64 exec, exec, s[16:17]
	v_mov_b32_e32 v2, 0
	s_and_saveexec_b64 s[16:17], s[14:15]
	s_cbranch_execnz .LBB15_1020
	s_branch .LBB15_1021
.LBB15_1293:
	s_mov_b64 s[0:1], -1
                                        ; implicit-def: $vgpr1
	s_mov_b64 s[6:7], 0
.LBB15_1294:
	s_and_b64 vcc, exec, s[12:13]
	s_cbranch_vccz .LBB15_1298
; %bb.1295:
	s_cmp_eq_u32 s18, 44
	s_cbranch_scc0 .LBB15_1297
; %bb.1296:
	global_load_ubyte v1, v[9:10], off
	s_movk_i32 s6, 0xff
	v_mov_b32_e32 v3, 0x7f800001
	v_mov_b32_e32 v11, 0x400000
	s_mov_b64 s[0:1], 0
	s_waitcnt vmcnt(0)
	v_lshlrev_b32_e32 v12, 23, v1
	v_cmp_ne_u32_e32 vcc, s6, v1
	v_cndmask_b32_e32 v3, v3, v12, vcc
	v_cmp_ne_u32_e32 vcc, 0, v1
	v_cndmask_b32_e32 v1, v11, v3, vcc
	s_mov_b64 s[6:7], -1
	s_branch .LBB15_1298
.LBB15_1297:
	s_mov_b64 s[0:1], -1
                                        ; implicit-def: $vgpr1
.LBB15_1298:
	s_mov_b64 s[12:13], 0
.LBB15_1299:
	s_and_b64 vcc, exec, s[12:13]
	s_cbranch_vccz .LBB15_1303
; %bb.1300:
	s_cmp_eq_u32 s18, 29
	s_cbranch_scc0 .LBB15_1302
; %bb.1301:
	global_load_dwordx2 v[11:12], v[9:10], off
	s_mov_b64 s[0:1], 0
	s_mov_b64 s[6:7], -1
	s_mov_b64 s[12:13], 0
	s_waitcnt vmcnt(0)
	v_ffbh_u32_e32 v1, v12
	v_min_u32_e32 v1, 32, v1
	v_lshlrev_b64 v[11:12], v1, v[11:12]
	v_sub_u32_e32 v1, 32, v1
	v_min_u32_e32 v3, 1, v11
	v_or_b32_e32 v3, v12, v3
	v_cvt_f32_u32_e32 v3, v3
	v_ldexp_f32 v1, v3, v1
	s_branch .LBB15_1304
.LBB15_1302:
	s_mov_b64 s[0:1], -1
                                        ; implicit-def: $vgpr1
.LBB15_1303:
	s_mov_b64 s[12:13], 0
.LBB15_1304:
	s_and_b64 vcc, exec, s[12:13]
	s_cbranch_vccz .LBB15_1322
; %bb.1305:
	s_cmp_lt_i32 s18, 27
	s_cbranch_scc1 .LBB15_1308
; %bb.1306:
	s_cmp_gt_i32 s18, 27
	s_cbranch_scc0 .LBB15_1309
; %bb.1307:
	global_load_dword v1, v[9:10], off
	s_mov_b64 s[6:7], 0
	s_waitcnt vmcnt(0)
	v_cvt_f32_u32_e32 v1, v1
	s_branch .LBB15_1310
.LBB15_1308:
	s_mov_b64 s[6:7], -1
                                        ; implicit-def: $vgpr1
	s_branch .LBB15_1313
.LBB15_1309:
	s_mov_b64 s[6:7], -1
                                        ; implicit-def: $vgpr1
.LBB15_1310:
	s_andn2_b64 vcc, exec, s[6:7]
	s_cbranch_vccnz .LBB15_1312
; %bb.1311:
	global_load_ushort v1, v[9:10], off
	s_waitcnt vmcnt(0)
	v_cvt_f32_u32_e32 v1, v1
.LBB15_1312:
	s_mov_b64 s[6:7], 0
.LBB15_1313:
	s_andn2_b64 vcc, exec, s[6:7]
	s_cbranch_vccnz .LBB15_1321
; %bb.1314:
	global_load_ubyte v3, v[9:10], off
	s_movk_i32 s6, 0x7f
	s_waitcnt vmcnt(0)
	v_cmp_lt_i16_e32 vcc, s6, v3
	s_mov_b64 s[6:7], 0
	s_and_saveexec_b64 s[12:13], vcc
	s_xor_b64 s[12:13], exec, s[12:13]
	s_cbranch_execz .LBB15_1334
; %bb.1315:
	s_movk_i32 s6, 0x80
	v_cmp_eq_u16_e32 vcc, s6, v3
	s_mov_b64 s[6:7], -1
	s_and_saveexec_b64 s[14:15], vcc
; %bb.1316:
	s_xor_b64 s[6:7], exec, -1
; %bb.1317:
	s_or_b64 exec, exec, s[14:15]
	s_and_b64 s[6:7], s[6:7], exec
	s_or_saveexec_b64 s[12:13], s[12:13]
	v_mov_b32_e32 v1, 0x7f800001
	s_xor_b64 exec, exec, s[12:13]
	s_cbranch_execnz .LBB15_1335
.LBB15_1318:
	s_or_b64 exec, exec, s[12:13]
	s_and_saveexec_b64 s[12:13], s[6:7]
	s_cbranch_execz .LBB15_1320
.LBB15_1319:
	v_lshlrev_b32_e32 v1, 24, v3
	v_and_b32_e32 v3, 0xffff, v3
	v_and_b32_e32 v11, 7, v3
	v_ffbh_u32_e32 v13, v11
	v_min_u32_e32 v13, 32, v13
	v_subrev_u32_e32 v14, 28, v13
	v_bfe_u32 v12, v3, 3, 4
	v_lshlrev_b32_e32 v3, v14, v3
	v_sub_u32_e32 v13, 29, v13
	v_and_b32_e32 v3, 7, v3
	v_cmp_eq_u32_e32 vcc, 0, v12
	v_cndmask_b32_e32 v12, v12, v13, vcc
	v_cndmask_b32_e32 v3, v11, v3, vcc
	v_mov_b32_e32 v11, 0x3b800000
	v_lshlrev_b32_e32 v3, 20, v3
	v_and_b32_e32 v1, 0x80000000, v1
	v_lshl_add_u32 v11, v12, 23, v11
	v_or3_b32 v1, v1, v11, v3
.LBB15_1320:
	s_or_b64 exec, exec, s[12:13]
.LBB15_1321:
	s_mov_b64 s[6:7], -1
.LBB15_1322:
	s_branch .LBB15_1355
.LBB15_1323:
	s_cmp_gt_i32 s18, 22
	s_cbranch_scc0 .LBB15_1333
; %bb.1324:
	s_cmp_lt_i32 s18, 24
	s_cbranch_scc1 .LBB15_1336
; %bb.1325:
	s_cmp_gt_i32 s18, 24
	s_cbranch_scc0 .LBB15_1337
; %bb.1326:
	global_load_ubyte v3, v[9:10], off
	s_movk_i32 s4, 0x7f
	s_waitcnt vmcnt(0)
	v_cmp_lt_i16_e32 vcc, s4, v3
	s_mov_b64 s[4:5], 0
	s_and_saveexec_b64 s[6:7], vcc
	s_xor_b64 s[6:7], exec, s[6:7]
	s_cbranch_execz .LBB15_1349
; %bb.1327:
	s_movk_i32 s4, 0x80
	v_cmp_eq_u16_e32 vcc, s4, v3
	s_mov_b64 s[4:5], -1
	s_and_saveexec_b64 s[12:13], vcc
; %bb.1328:
	s_xor_b64 s[4:5], exec, -1
; %bb.1329:
	s_or_b64 exec, exec, s[12:13]
	s_and_b64 s[4:5], s[4:5], exec
	s_or_saveexec_b64 s[6:7], s[6:7]
	v_mov_b32_e32 v1, 0x7f800001
	s_xor_b64 exec, exec, s[6:7]
	s_cbranch_execnz .LBB15_1350
.LBB15_1330:
	s_or_b64 exec, exec, s[6:7]
	s_and_saveexec_b64 s[6:7], s[4:5]
	s_cbranch_execz .LBB15_1332
.LBB15_1331:
	v_lshlrev_b32_e32 v1, 24, v3
	v_and_b32_e32 v3, 0xffff, v3
	v_and_b32_e32 v11, 3, v3
	v_ffbh_u32_e32 v13, v11
	v_min_u32_e32 v13, 32, v13
	v_subrev_u32_e32 v14, 29, v13
	v_bfe_u32 v12, v3, 2, 5
	v_lshlrev_b32_e32 v3, v14, v3
	v_sub_u32_e32 v13, 30, v13
	v_and_b32_e32 v3, 3, v3
	v_cmp_eq_u32_e32 vcc, 0, v12
	v_cndmask_b32_e32 v12, v12, v13, vcc
	v_cndmask_b32_e32 v3, v11, v3, vcc
	v_mov_b32_e32 v11, 0x37800000
	v_lshlrev_b32_e32 v3, 21, v3
	v_and_b32_e32 v1, 0x80000000, v1
	v_lshl_add_u32 v11, v12, 23, v11
	v_or3_b32 v1, v1, v11, v3
.LBB15_1332:
	s_or_b64 exec, exec, s[6:7]
	s_mov_b64 s[4:5], 0
	s_branch .LBB15_1338
.LBB15_1333:
	s_mov_b64 s[4:5], -1
                                        ; implicit-def: $vgpr1
	s_branch .LBB15_1344
.LBB15_1334:
	s_or_saveexec_b64 s[12:13], s[12:13]
	v_mov_b32_e32 v1, 0x7f800001
	s_xor_b64 exec, exec, s[12:13]
	s_cbranch_execz .LBB15_1318
.LBB15_1335:
	v_cmp_ne_u16_e32 vcc, 0, v3
	s_andn2_b64 s[6:7], s[6:7], exec
	s_and_b64 s[14:15], vcc, exec
	v_mov_b32_e32 v1, 0
	s_or_b64 s[6:7], s[6:7], s[14:15]
	s_or_b64 exec, exec, s[12:13]
	s_and_saveexec_b64 s[12:13], s[6:7]
	s_cbranch_execnz .LBB15_1319
	s_branch .LBB15_1320
.LBB15_1336:
	s_mov_b64 s[4:5], -1
                                        ; implicit-def: $vgpr1
	s_branch .LBB15_1341
.LBB15_1337:
	s_mov_b64 s[4:5], -1
                                        ; implicit-def: $vgpr1
.LBB15_1338:
	s_and_b64 vcc, exec, s[4:5]
	s_cbranch_vccz .LBB15_1340
; %bb.1339:
	global_load_ubyte v1, v[9:10], off
	s_mov_b32 s4, 0x7f800000
	s_waitcnt vmcnt(0)
	v_lshlrev_b32_e32 v1, 24, v1
	v_and_b32_e32 v3, 0x7f000000, v1
	v_ffbh_u32_e32 v11, v3
	v_min_u32_e32 v11, 32, v11
	v_sub_u32_e64 v11, v11, 4 clamp
	v_lshlrev_b32_e32 v13, v11, v3
	v_lshlrev_b32_e32 v11, 23, v11
	v_lshrrev_b32_e32 v13, 4, v13
	v_add_u32_e32 v12, 0x1000000, v3
	v_sub_u32_e32 v11, v13, v11
	v_ashrrev_i32_e32 v12, 8, v12
	v_add_u32_e32 v11, 0x3c000000, v11
	v_and_or_b32 v11, v12, s4, v11
	v_cmp_ne_u32_e32 vcc, 0, v3
	v_cndmask_b32_e32 v3, 0, v11, vcc
	s_brev_b32 s4, 1
	v_and_or_b32 v1, v1, s4, v3
.LBB15_1340:
	s_mov_b64 s[4:5], 0
.LBB15_1341:
	s_andn2_b64 vcc, exec, s[4:5]
	s_cbranch_vccnz .LBB15_1343
; %bb.1342:
	global_load_ubyte v1, v[9:10], off
	s_movk_i32 s4, 0x7f00
	s_brev_b32 s5, 16
	s_waitcnt vmcnt(0)
	v_lshlrev_b16_e32 v3, 8, v1
	v_lshlrev_b32_e32 v1, 25, v1
	v_lshrrev_b32_e32 v11, 4, v1
	v_and_or_b32 v12, v3, s4, 0.5
	v_or_b32_e32 v11, 0x70000000, v11
	v_add_f32_e32 v12, -0.5, v12
	v_mul_f32_e32 v11, 0x7800000, v11
	v_cmp_gt_u32_e32 vcc, s5, v1
	v_bfe_i32 v3, v3, 0, 16
	v_cndmask_b32_e32 v1, v11, v12, vcc
	s_brev_b32 s4, 1
	v_and_or_b32 v1, v3, s4, v1
.LBB15_1343:
	s_mov_b64 s[4:5], 0
	s_mov_b64 s[6:7], -1
.LBB15_1344:
	s_andn2_b64 vcc, exec, s[4:5]
	s_mov_b64 s[4:5], 0
	s_cbranch_vccnz .LBB15_1355
; %bb.1345:
	s_cmp_gt_i32 s18, 14
	s_cbranch_scc0 .LBB15_1348
; %bb.1346:
	s_cmp_eq_u32 s18, 15
	s_cbranch_scc0 .LBB15_1351
; %bb.1347:
	global_load_ushort v1, v[9:10], off
	s_mov_b64 s[0:1], 0
	s_mov_b64 s[6:7], -1
	s_waitcnt vmcnt(0)
	v_lshlrev_b32_e32 v1, 16, v1
	s_branch .LBB15_1352
.LBB15_1348:
	s_mov_b64 s[12:13], -1
                                        ; implicit-def: $vgpr1
	s_branch .LBB15_1353
.LBB15_1349:
	s_or_saveexec_b64 s[6:7], s[6:7]
	v_mov_b32_e32 v1, 0x7f800001
	s_xor_b64 exec, exec, s[6:7]
	s_cbranch_execz .LBB15_1330
.LBB15_1350:
	v_cmp_ne_u16_e32 vcc, 0, v3
	s_andn2_b64 s[4:5], s[4:5], exec
	s_and_b64 s[12:13], vcc, exec
	v_mov_b32_e32 v1, 0
	s_or_b64 s[4:5], s[4:5], s[12:13]
	s_or_b64 exec, exec, s[6:7]
	s_and_saveexec_b64 s[6:7], s[4:5]
	s_cbranch_execnz .LBB15_1331
	s_branch .LBB15_1332
.LBB15_1351:
	s_mov_b64 s[0:1], -1
                                        ; implicit-def: $vgpr1
.LBB15_1352:
	s_mov_b64 s[12:13], 0
.LBB15_1353:
	s_and_b64 vcc, exec, s[12:13]
	s_cbranch_vccz .LBB15_1355
; %bb.1354:
	s_cmp_lg_u32 s18, 11
	s_mov_b64 s[4:5], -1
	s_cselect_b64 s[0:1], -1, 0
.LBB15_1355:
	s_and_b64 vcc, exec, s[0:1]
	s_cbranch_vccnz .LBB15_1420
; %bb.1356:
	s_andn2_b64 vcc, exec, s[4:5]
	s_cbranch_vccnz .LBB15_1358
.LBB15_1357:
	global_load_ubyte v1, v[9:10], off
	s_mov_b64 s[6:7], -1
	s_waitcnt vmcnt(0)
	v_cmp_ne_u16_e32 vcc, 0, v1
	v_cndmask_b32_e64 v1, 0, 1.0, vcc
.LBB15_1358:
	s_branch .LBB15_1285
.LBB15_1359:
	s_and_b32 s4, 0xffff, s17
	s_cmp_lt_i32 s4, 5
	s_cbranch_scc1 .LBB15_1364
; %bb.1360:
	s_cmp_lt_i32 s4, 8
	s_cbranch_scc1 .LBB15_1365
; %bb.1361:
	;; [unrolled: 3-line block ×3, first 2 shown]
	s_cmp_gt_i32 s4, 9
	s_cbranch_scc0 .LBB15_1367
; %bb.1363:
	global_load_dwordx2 v[11:12], v[9:10], off
	s_mov_b64 s[0:1], 0
	s_waitcnt vmcnt(0)
	v_cvt_f32_f64_e32 v1, v[11:12]
	s_branch .LBB15_1368
.LBB15_1364:
                                        ; implicit-def: $vgpr1
	s_branch .LBB15_1386
.LBB15_1365:
	s_mov_b64 s[0:1], -1
                                        ; implicit-def: $vgpr1
	s_branch .LBB15_1374
.LBB15_1366:
	s_mov_b64 s[0:1], -1
                                        ; implicit-def: $vgpr1
	s_branch .LBB15_1371
.LBB15_1367:
	s_mov_b64 s[0:1], -1
                                        ; implicit-def: $vgpr1
.LBB15_1368:
	s_andn2_b64 vcc, exec, s[0:1]
	s_cbranch_vccnz .LBB15_1370
; %bb.1369:
	global_load_dword v1, v[9:10], off
.LBB15_1370:
	s_mov_b64 s[0:1], 0
.LBB15_1371:
	s_andn2_b64 vcc, exec, s[0:1]
	s_cbranch_vccnz .LBB15_1373
; %bb.1372:
	global_load_dword v1, v[9:10], off
	s_waitcnt vmcnt(0)
	v_cvt_f32_f16_e32 v1, v1
.LBB15_1373:
	s_mov_b64 s[0:1], 0
.LBB15_1374:
	s_andn2_b64 vcc, exec, s[0:1]
	s_cbranch_vccnz .LBB15_1385
; %bb.1375:
	s_cmp_lt_i32 s4, 6
	s_cbranch_scc1 .LBB15_1378
; %bb.1376:
	s_cmp_gt_i32 s4, 6
	s_cbranch_scc0 .LBB15_1379
; %bb.1377:
	global_load_dwordx2 v[11:12], v[9:10], off
	s_mov_b64 s[0:1], 0
	s_waitcnt vmcnt(0)
	v_cvt_f32_f64_e32 v1, v[11:12]
	s_branch .LBB15_1380
.LBB15_1378:
	s_mov_b64 s[0:1], -1
                                        ; implicit-def: $vgpr1
	s_branch .LBB15_1383
.LBB15_1379:
	s_mov_b64 s[0:1], -1
                                        ; implicit-def: $vgpr1
.LBB15_1380:
	s_andn2_b64 vcc, exec, s[0:1]
	s_cbranch_vccnz .LBB15_1382
; %bb.1381:
	global_load_dword v1, v[9:10], off
.LBB15_1382:
	s_mov_b64 s[0:1], 0
.LBB15_1383:
	s_andn2_b64 vcc, exec, s[0:1]
	s_cbranch_vccnz .LBB15_1385
; %bb.1384:
	global_load_ushort v1, v[9:10], off
	s_waitcnt vmcnt(0)
	v_cvt_f32_f16_e32 v1, v1
.LBB15_1385:
	s_cbranch_execnz .LBB15_1405
.LBB15_1386:
	s_cmp_lt_i32 s4, 2
	s_cbranch_scc1 .LBB15_1390
; %bb.1387:
	s_cmp_lt_i32 s4, 3
	s_cbranch_scc1 .LBB15_1391
; %bb.1388:
	s_cmp_gt_i32 s4, 3
	s_cbranch_scc0 .LBB15_1392
; %bb.1389:
	global_load_dwordx2 v[11:12], v[9:10], off
	s_mov_b64 s[0:1], 0
	s_waitcnt vmcnt(0)
	v_xor_b32_e32 v3, v11, v12
	v_ffbh_i32_e32 v1, v12
	v_ashrrev_i32_e32 v3, 31, v3
	v_add_u32_e32 v1, -1, v1
	v_add_u32_e32 v3, 32, v3
	v_min_u32_e32 v1, v1, v3
	v_lshlrev_b64 v[11:12], v1, v[11:12]
	v_sub_u32_e32 v1, 32, v1
	v_min_u32_e32 v3, 1, v11
	v_or_b32_e32 v3, v12, v3
	v_cvt_f32_i32_e32 v3, v3
	v_ldexp_f32 v1, v3, v1
	s_branch .LBB15_1393
.LBB15_1390:
	s_mov_b64 s[0:1], -1
                                        ; implicit-def: $vgpr1
	s_branch .LBB15_1399
.LBB15_1391:
	s_mov_b64 s[0:1], -1
                                        ; implicit-def: $vgpr1
	s_branch .LBB15_1396
.LBB15_1392:
	s_mov_b64 s[0:1], -1
                                        ; implicit-def: $vgpr1
.LBB15_1393:
	s_andn2_b64 vcc, exec, s[0:1]
	s_cbranch_vccnz .LBB15_1395
; %bb.1394:
	global_load_dword v1, v[9:10], off
	s_waitcnt vmcnt(0)
	v_cvt_f32_i32_e32 v1, v1
.LBB15_1395:
	s_mov_b64 s[0:1], 0
.LBB15_1396:
	s_andn2_b64 vcc, exec, s[0:1]
	s_cbranch_vccnz .LBB15_1398
; %bb.1397:
	global_load_sshort v1, v[9:10], off
	s_waitcnt vmcnt(0)
	v_cvt_f32_i32_e32 v1, v1
.LBB15_1398:
	s_mov_b64 s[0:1], 0
.LBB15_1399:
	s_andn2_b64 vcc, exec, s[0:1]
	s_cbranch_vccnz .LBB15_1405
; %bb.1400:
	s_cmp_gt_i32 s4, 0
	s_cbranch_scc0 .LBB15_1402
; %bb.1401:
	global_load_sbyte v1, v[9:10], off
	s_mov_b64 s[0:1], 0
	s_waitcnt vmcnt(0)
	v_cvt_f32_i32_e32 v1, v1
	s_branch .LBB15_1403
.LBB15_1402:
	s_mov_b64 s[0:1], -1
                                        ; implicit-def: $vgpr1
.LBB15_1403:
	s_andn2_b64 vcc, exec, s[0:1]
	s_cbranch_vccnz .LBB15_1405
; %bb.1404:
	global_load_ubyte v1, v[9:10], off
	s_waitcnt vmcnt(0)
	v_cvt_f32_ubyte0_e32 v1, v1
.LBB15_1405:
.LBB15_1406:
	s_waitcnt vmcnt(0)
	v_cmp_lt_f32_e32 vcc, s16, v1
	v_mov_b32_e32 v3, 1.0
	s_and_saveexec_b64 s[0:1], vcc
	s_cbranch_execz .LBB15_1408
; %bb.1407:
	v_add_f32_e32 v1, 0x33d6bf95, v1
	v_div_scale_f32 v3, s[4:5], v1, v1, s16
	v_div_scale_f32 v9, vcc, s16, v1, s16
	v_rcp_f32_e32 v10, v3
	v_fma_f32 v11, -v3, v10, 1.0
	v_fmac_f32_e32 v10, v11, v10
	v_mul_f32_e32 v11, v9, v10
	v_fma_f32 v12, -v3, v11, v9
	v_fmac_f32_e32 v11, v12, v10
	v_fma_f32 v3, -v3, v11, v9
	v_div_fmas_f32 v3, v3, v10, v11
	v_div_fixup_f32 v3, v3, v1, s16
.LBB15_1408:
	s_or_b64 exec, exec, s[0:1]
	v_mov_b32_e32 v1, s11
	v_add_co_u32_e32 v9, vcc, s10, v7
	s_cmp_lt_i32 s17, 11
	v_addc_co_u32_e32 v10, vcc, 0, v1, vcc
	s_cbranch_scc1 .LBB15_1415
; %bb.1409:
	s_and_b32 s18, 0xffff, s17
	s_cmp_gt_i32 s18, 25
	s_mov_b64 s[4:5], 0
	s_cbranch_scc0 .LBB15_1417
; %bb.1410:
	s_cmp_gt_i32 s18, 28
	s_cbranch_scc0 .LBB15_1418
; %bb.1411:
	s_cmp_gt_i32 s18, 43
	;; [unrolled: 3-line block ×3, first 2 shown]
	s_cbranch_scc0 .LBB15_1421
; %bb.1413:
	s_cmp_eq_u32 s18, 46
	s_mov_b64 s[12:13], 0
	s_cbranch_scc0 .LBB15_1422
; %bb.1414:
	global_load_dword v1, v[9:10], off
	s_mov_b64 s[0:1], 0
	s_mov_b64 s[6:7], -1
	s_waitcnt vmcnt(0)
	v_lshlrev_b32_e32 v1, 16, v1
	s_branch .LBB15_1423
.LBB15_1415:
	s_mov_b64 s[6:7], 0
                                        ; implicit-def: $vgpr1
	s_cbranch_execnz .LBB15_1489
.LBB15_1416:
	s_andn2_b64 vcc, exec, s[6:7]
	s_cbranch_vccnz .LBB15_1749
	s_branch .LBB15_1537
.LBB15_1417:
	s_mov_b64 s[12:13], -1
	s_mov_b64 s[6:7], 0
	s_mov_b64 s[0:1], 0
                                        ; implicit-def: $vgpr1
	s_branch .LBB15_1452
.LBB15_1418:
	s_mov_b64 s[12:13], -1
	s_mov_b64 s[6:7], 0
	s_mov_b64 s[0:1], 0
                                        ; implicit-def: $vgpr1
	s_branch .LBB15_1433
.LBB15_1419:
	s_mov_b64 s[12:13], -1
	s_mov_b64 s[6:7], 0
	s_mov_b64 s[0:1], 0
                                        ; implicit-def: $vgpr1
	s_branch .LBB15_1428
.LBB15_1420:
	s_trap 2
	s_or_b64 s[2:3], s[2:3], exec
	s_cbranch_execz .LBB15_1357
	s_branch .LBB15_1358
.LBB15_1421:
	s_mov_b64 s[12:13], -1
	s_mov_b64 s[6:7], 0
	s_mov_b64 s[0:1], 0
                                        ; implicit-def: $vgpr1
	s_branch .LBB15_1423
.LBB15_1422:
	s_mov_b64 s[0:1], -1
                                        ; implicit-def: $vgpr1
	s_mov_b64 s[6:7], 0
.LBB15_1423:
	s_and_b64 vcc, exec, s[12:13]
	s_cbranch_vccz .LBB15_1427
; %bb.1424:
	s_cmp_eq_u32 s18, 44
	s_cbranch_scc0 .LBB15_1426
; %bb.1425:
	global_load_ubyte v1, v[9:10], off
	s_movk_i32 s6, 0xff
	v_mov_b32_e32 v7, 0x7f800001
	v_mov_b32_e32 v11, 0x400000
	s_mov_b64 s[0:1], 0
	s_waitcnt vmcnt(0)
	v_lshlrev_b32_e32 v12, 23, v1
	v_cmp_ne_u32_e32 vcc, s6, v1
	v_cndmask_b32_e32 v7, v7, v12, vcc
	v_cmp_ne_u32_e32 vcc, 0, v1
	v_cndmask_b32_e32 v1, v11, v7, vcc
	s_mov_b64 s[6:7], -1
	s_branch .LBB15_1427
.LBB15_1426:
	s_mov_b64 s[0:1], -1
                                        ; implicit-def: $vgpr1
.LBB15_1427:
	s_mov_b64 s[12:13], 0
.LBB15_1428:
	s_and_b64 vcc, exec, s[12:13]
	s_cbranch_vccz .LBB15_1432
; %bb.1429:
	s_cmp_eq_u32 s18, 29
	s_cbranch_scc0 .LBB15_1431
; %bb.1430:
	global_load_dwordx2 v[11:12], v[9:10], off
	s_mov_b64 s[0:1], 0
	s_mov_b64 s[6:7], -1
	s_mov_b64 s[12:13], 0
	s_waitcnt vmcnt(0)
	v_ffbh_u32_e32 v1, v12
	v_min_u32_e32 v1, 32, v1
	v_lshlrev_b64 v[11:12], v1, v[11:12]
	v_sub_u32_e32 v1, 32, v1
	v_min_u32_e32 v7, 1, v11
	v_or_b32_e32 v7, v12, v7
	v_cvt_f32_u32_e32 v7, v7
	v_ldexp_f32 v1, v7, v1
	s_branch .LBB15_1433
.LBB15_1431:
	s_mov_b64 s[0:1], -1
                                        ; implicit-def: $vgpr1
.LBB15_1432:
	s_mov_b64 s[12:13], 0
.LBB15_1433:
	s_and_b64 vcc, exec, s[12:13]
	s_cbranch_vccz .LBB15_1451
; %bb.1434:
	s_cmp_lt_i32 s18, 27
	s_cbranch_scc1 .LBB15_1437
; %bb.1435:
	s_cmp_gt_i32 s18, 27
	s_cbranch_scc0 .LBB15_1438
; %bb.1436:
	global_load_dword v1, v[9:10], off
	s_mov_b64 s[6:7], 0
	s_waitcnt vmcnt(0)
	v_cvt_f32_u32_e32 v1, v1
	s_branch .LBB15_1439
.LBB15_1437:
	s_mov_b64 s[6:7], -1
                                        ; implicit-def: $vgpr1
	s_branch .LBB15_1442
.LBB15_1438:
	s_mov_b64 s[6:7], -1
                                        ; implicit-def: $vgpr1
.LBB15_1439:
	s_andn2_b64 vcc, exec, s[6:7]
	s_cbranch_vccnz .LBB15_1441
; %bb.1440:
	global_load_ushort v1, v[9:10], off
	s_waitcnt vmcnt(0)
	v_cvt_f32_u32_e32 v1, v1
.LBB15_1441:
	s_mov_b64 s[6:7], 0
.LBB15_1442:
	s_andn2_b64 vcc, exec, s[6:7]
	s_cbranch_vccnz .LBB15_1450
; %bb.1443:
	global_load_ubyte v7, v[9:10], off
	s_movk_i32 s6, 0x7f
	s_waitcnt vmcnt(0)
	v_cmp_lt_i16_e32 vcc, s6, v7
	s_mov_b64 s[6:7], 0
	s_and_saveexec_b64 s[12:13], vcc
	s_xor_b64 s[12:13], exec, s[12:13]
	s_cbranch_execz .LBB15_1464
; %bb.1444:
	s_movk_i32 s6, 0x80
	v_cmp_eq_u16_e32 vcc, s6, v7
	s_mov_b64 s[6:7], -1
	s_and_saveexec_b64 s[14:15], vcc
; %bb.1445:
	s_xor_b64 s[6:7], exec, -1
; %bb.1446:
	s_or_b64 exec, exec, s[14:15]
	s_and_b64 s[6:7], s[6:7], exec
	s_or_saveexec_b64 s[12:13], s[12:13]
	v_mov_b32_e32 v1, 0x7f800001
	s_xor_b64 exec, exec, s[12:13]
	s_cbranch_execnz .LBB15_1465
.LBB15_1447:
	s_or_b64 exec, exec, s[12:13]
	s_and_saveexec_b64 s[12:13], s[6:7]
	s_cbranch_execz .LBB15_1449
.LBB15_1448:
	v_lshlrev_b32_e32 v1, 24, v7
	v_and_b32_e32 v7, 0xffff, v7
	v_and_b32_e32 v11, 7, v7
	v_ffbh_u32_e32 v13, v11
	v_min_u32_e32 v13, 32, v13
	v_subrev_u32_e32 v14, 28, v13
	v_bfe_u32 v12, v7, 3, 4
	v_lshlrev_b32_e32 v7, v14, v7
	v_sub_u32_e32 v13, 29, v13
	v_and_b32_e32 v7, 7, v7
	v_cmp_eq_u32_e32 vcc, 0, v12
	v_cndmask_b32_e32 v12, v12, v13, vcc
	v_cndmask_b32_e32 v7, v11, v7, vcc
	v_mov_b32_e32 v11, 0x3b800000
	v_lshlrev_b32_e32 v7, 20, v7
	v_and_b32_e32 v1, 0x80000000, v1
	v_lshl_add_u32 v11, v12, 23, v11
	v_or3_b32 v1, v1, v11, v7
.LBB15_1449:
	s_or_b64 exec, exec, s[12:13]
.LBB15_1450:
	s_mov_b64 s[6:7], -1
.LBB15_1451:
	s_mov_b64 s[12:13], 0
.LBB15_1452:
	s_and_b64 vcc, exec, s[12:13]
	s_cbranch_vccz .LBB15_1485
; %bb.1453:
	s_cmp_gt_i32 s18, 22
	s_cbranch_scc0 .LBB15_1463
; %bb.1454:
	s_cmp_lt_i32 s18, 24
	s_cbranch_scc1 .LBB15_1466
; %bb.1455:
	s_cmp_gt_i32 s18, 24
	s_cbranch_scc0 .LBB15_1467
; %bb.1456:
	global_load_ubyte v7, v[9:10], off
	s_movk_i32 s4, 0x7f
	s_waitcnt vmcnt(0)
	v_cmp_lt_i16_e32 vcc, s4, v7
	s_mov_b64 s[4:5], 0
	s_and_saveexec_b64 s[6:7], vcc
	s_xor_b64 s[6:7], exec, s[6:7]
	s_cbranch_execz .LBB15_1479
; %bb.1457:
	s_movk_i32 s4, 0x80
	v_cmp_eq_u16_e32 vcc, s4, v7
	s_mov_b64 s[4:5], -1
	s_and_saveexec_b64 s[12:13], vcc
; %bb.1458:
	s_xor_b64 s[4:5], exec, -1
; %bb.1459:
	s_or_b64 exec, exec, s[12:13]
	s_and_b64 s[4:5], s[4:5], exec
	s_or_saveexec_b64 s[6:7], s[6:7]
	v_mov_b32_e32 v1, 0x7f800001
	s_xor_b64 exec, exec, s[6:7]
	s_cbranch_execnz .LBB15_1480
.LBB15_1460:
	s_or_b64 exec, exec, s[6:7]
	s_and_saveexec_b64 s[6:7], s[4:5]
	s_cbranch_execz .LBB15_1462
.LBB15_1461:
	v_lshlrev_b32_e32 v1, 24, v7
	v_and_b32_e32 v7, 0xffff, v7
	v_and_b32_e32 v11, 3, v7
	v_ffbh_u32_e32 v13, v11
	v_min_u32_e32 v13, 32, v13
	v_subrev_u32_e32 v14, 29, v13
	v_bfe_u32 v12, v7, 2, 5
	v_lshlrev_b32_e32 v7, v14, v7
	v_sub_u32_e32 v13, 30, v13
	v_and_b32_e32 v7, 3, v7
	v_cmp_eq_u32_e32 vcc, 0, v12
	v_cndmask_b32_e32 v12, v12, v13, vcc
	v_cndmask_b32_e32 v7, v11, v7, vcc
	v_mov_b32_e32 v11, 0x37800000
	v_lshlrev_b32_e32 v7, 21, v7
	v_and_b32_e32 v1, 0x80000000, v1
	v_lshl_add_u32 v11, v12, 23, v11
	v_or3_b32 v1, v1, v11, v7
.LBB15_1462:
	s_or_b64 exec, exec, s[6:7]
	s_mov_b64 s[4:5], 0
	s_branch .LBB15_1468
.LBB15_1463:
	s_mov_b64 s[4:5], -1
                                        ; implicit-def: $vgpr1
	s_branch .LBB15_1474
.LBB15_1464:
	s_or_saveexec_b64 s[12:13], s[12:13]
	v_mov_b32_e32 v1, 0x7f800001
	s_xor_b64 exec, exec, s[12:13]
	s_cbranch_execz .LBB15_1447
.LBB15_1465:
	v_cmp_ne_u16_e32 vcc, 0, v7
	s_andn2_b64 s[6:7], s[6:7], exec
	s_and_b64 s[14:15], vcc, exec
	v_mov_b32_e32 v1, 0
	s_or_b64 s[6:7], s[6:7], s[14:15]
	s_or_b64 exec, exec, s[12:13]
	s_and_saveexec_b64 s[12:13], s[6:7]
	s_cbranch_execnz .LBB15_1448
	s_branch .LBB15_1449
.LBB15_1466:
	s_mov_b64 s[4:5], -1
                                        ; implicit-def: $vgpr1
	s_branch .LBB15_1471
.LBB15_1467:
	s_mov_b64 s[4:5], -1
                                        ; implicit-def: $vgpr1
.LBB15_1468:
	s_and_b64 vcc, exec, s[4:5]
	s_cbranch_vccz .LBB15_1470
; %bb.1469:
	global_load_ubyte v1, v[9:10], off
	s_mov_b32 s4, 0x7f800000
	s_waitcnt vmcnt(0)
	v_lshlrev_b32_e32 v1, 24, v1
	v_and_b32_e32 v7, 0x7f000000, v1
	v_ffbh_u32_e32 v11, v7
	v_min_u32_e32 v11, 32, v11
	v_sub_u32_e64 v11, v11, 4 clamp
	v_lshlrev_b32_e32 v13, v11, v7
	v_lshlrev_b32_e32 v11, 23, v11
	v_lshrrev_b32_e32 v13, 4, v13
	v_add_u32_e32 v12, 0x1000000, v7
	v_sub_u32_e32 v11, v13, v11
	v_ashrrev_i32_e32 v12, 8, v12
	v_add_u32_e32 v11, 0x3c000000, v11
	v_and_or_b32 v11, v12, s4, v11
	v_cmp_ne_u32_e32 vcc, 0, v7
	v_cndmask_b32_e32 v7, 0, v11, vcc
	s_brev_b32 s4, 1
	v_and_or_b32 v1, v1, s4, v7
.LBB15_1470:
	s_mov_b64 s[4:5], 0
.LBB15_1471:
	s_andn2_b64 vcc, exec, s[4:5]
	s_cbranch_vccnz .LBB15_1473
; %bb.1472:
	global_load_ubyte v1, v[9:10], off
	s_movk_i32 s4, 0x7f00
	s_brev_b32 s5, 16
	s_waitcnt vmcnt(0)
	v_lshlrev_b16_e32 v7, 8, v1
	v_lshlrev_b32_e32 v1, 25, v1
	v_lshrrev_b32_e32 v11, 4, v1
	v_and_or_b32 v12, v7, s4, 0.5
	v_or_b32_e32 v11, 0x70000000, v11
	v_add_f32_e32 v12, -0.5, v12
	v_mul_f32_e32 v11, 0x7800000, v11
	v_cmp_gt_u32_e32 vcc, s5, v1
	v_bfe_i32 v7, v7, 0, 16
	v_cndmask_b32_e32 v1, v11, v12, vcc
	s_brev_b32 s4, 1
	v_and_or_b32 v1, v7, s4, v1
.LBB15_1473:
	s_mov_b64 s[4:5], 0
	s_mov_b64 s[6:7], -1
.LBB15_1474:
	s_andn2_b64 vcc, exec, s[4:5]
	s_mov_b64 s[4:5], 0
	s_cbranch_vccnz .LBB15_1485
; %bb.1475:
	s_cmp_gt_i32 s18, 14
	s_cbranch_scc0 .LBB15_1478
; %bb.1476:
	s_cmp_eq_u32 s18, 15
	s_cbranch_scc0 .LBB15_1481
; %bb.1477:
	global_load_ushort v1, v[9:10], off
	s_mov_b64 s[0:1], 0
	s_mov_b64 s[6:7], -1
	s_waitcnt vmcnt(0)
	v_lshlrev_b32_e32 v1, 16, v1
	s_branch .LBB15_1482
.LBB15_1478:
	s_mov_b64 s[12:13], -1
                                        ; implicit-def: $vgpr1
	s_branch .LBB15_1483
.LBB15_1479:
	s_or_saveexec_b64 s[6:7], s[6:7]
	v_mov_b32_e32 v1, 0x7f800001
	s_xor_b64 exec, exec, s[6:7]
	s_cbranch_execz .LBB15_1460
.LBB15_1480:
	v_cmp_ne_u16_e32 vcc, 0, v7
	s_andn2_b64 s[4:5], s[4:5], exec
	s_and_b64 s[12:13], vcc, exec
	v_mov_b32_e32 v1, 0
	s_or_b64 s[4:5], s[4:5], s[12:13]
	s_or_b64 exec, exec, s[6:7]
	s_and_saveexec_b64 s[6:7], s[4:5]
	s_cbranch_execnz .LBB15_1461
	s_branch .LBB15_1462
.LBB15_1481:
	s_mov_b64 s[0:1], -1
                                        ; implicit-def: $vgpr1
.LBB15_1482:
	s_mov_b64 s[12:13], 0
.LBB15_1483:
	s_and_b64 vcc, exec, s[12:13]
	s_cbranch_vccz .LBB15_1485
; %bb.1484:
	s_cmp_lg_u32 s18, 11
	s_mov_b64 s[4:5], -1
	s_cselect_b64 s[0:1], -1, 0
.LBB15_1485:
	s_and_b64 vcc, exec, s[0:1]
	s_cbranch_vccnz .LBB15_1550
; %bb.1486:
	s_andn2_b64 vcc, exec, s[4:5]
	s_cbranch_vccnz .LBB15_1488
.LBB15_1487:
	global_load_ubyte v1, v[9:10], off
	s_mov_b64 s[6:7], -1
	s_waitcnt vmcnt(0)
	v_cmp_ne_u16_e32 vcc, 0, v1
	v_cndmask_b32_e64 v1, 0, 1.0, vcc
.LBB15_1488:
	s_branch .LBB15_1416
.LBB15_1489:
	s_and_b32 s4, 0xffff, s17
	s_cmp_lt_i32 s4, 5
	s_cbranch_scc1 .LBB15_1494
; %bb.1490:
	s_cmp_lt_i32 s4, 8
	s_cbranch_scc1 .LBB15_1495
; %bb.1491:
	;; [unrolled: 3-line block ×3, first 2 shown]
	s_cmp_gt_i32 s4, 9
	s_cbranch_scc0 .LBB15_1497
; %bb.1493:
	global_load_dwordx2 v[11:12], v[9:10], off
	s_mov_b64 s[0:1], 0
	s_waitcnt vmcnt(0)
	v_cvt_f32_f64_e32 v1, v[11:12]
	s_branch .LBB15_1498
.LBB15_1494:
	s_mov_b64 s[0:1], -1
                                        ; implicit-def: $vgpr1
	s_branch .LBB15_1516
.LBB15_1495:
	s_mov_b64 s[0:1], -1
                                        ; implicit-def: $vgpr1
	s_branch .LBB15_1504
.LBB15_1496:
	s_mov_b64 s[0:1], -1
                                        ; implicit-def: $vgpr1
	s_branch .LBB15_1501
.LBB15_1497:
	s_mov_b64 s[0:1], -1
                                        ; implicit-def: $vgpr1
.LBB15_1498:
	s_andn2_b64 vcc, exec, s[0:1]
	s_cbranch_vccnz .LBB15_1500
; %bb.1499:
	global_load_dword v1, v[9:10], off
.LBB15_1500:
	s_mov_b64 s[0:1], 0
.LBB15_1501:
	s_andn2_b64 vcc, exec, s[0:1]
	s_cbranch_vccnz .LBB15_1503
; %bb.1502:
	global_load_dword v1, v[9:10], off
	s_waitcnt vmcnt(0)
	v_cvt_f32_f16_e32 v1, v1
.LBB15_1503:
	s_mov_b64 s[0:1], 0
.LBB15_1504:
	s_andn2_b64 vcc, exec, s[0:1]
	s_cbranch_vccnz .LBB15_1515
; %bb.1505:
	s_cmp_lt_i32 s4, 6
	s_cbranch_scc1 .LBB15_1508
; %bb.1506:
	s_cmp_gt_i32 s4, 6
	s_cbranch_scc0 .LBB15_1509
; %bb.1507:
	global_load_dwordx2 v[11:12], v[9:10], off
	s_mov_b64 s[0:1], 0
	s_waitcnt vmcnt(0)
	v_cvt_f32_f64_e32 v1, v[11:12]
	s_branch .LBB15_1510
.LBB15_1508:
	s_mov_b64 s[0:1], -1
                                        ; implicit-def: $vgpr1
	s_branch .LBB15_1513
.LBB15_1509:
	s_mov_b64 s[0:1], -1
                                        ; implicit-def: $vgpr1
.LBB15_1510:
	s_andn2_b64 vcc, exec, s[0:1]
	s_cbranch_vccnz .LBB15_1512
; %bb.1511:
	global_load_dword v1, v[9:10], off
.LBB15_1512:
	s_mov_b64 s[0:1], 0
.LBB15_1513:
	s_andn2_b64 vcc, exec, s[0:1]
	s_cbranch_vccnz .LBB15_1515
; %bb.1514:
	global_load_ushort v1, v[9:10], off
	s_waitcnt vmcnt(0)
	v_cvt_f32_f16_e32 v1, v1
.LBB15_1515:
	s_mov_b64 s[0:1], 0
.LBB15_1516:
	s_andn2_b64 vcc, exec, s[0:1]
	s_cbranch_vccnz .LBB15_1536
; %bb.1517:
	s_cmp_lt_i32 s4, 2
	s_cbranch_scc1 .LBB15_1521
; %bb.1518:
	s_cmp_lt_i32 s4, 3
	s_cbranch_scc1 .LBB15_1522
; %bb.1519:
	s_cmp_gt_i32 s4, 3
	s_cbranch_scc0 .LBB15_1523
; %bb.1520:
	global_load_dwordx2 v[11:12], v[9:10], off
	s_mov_b64 s[0:1], 0
	s_waitcnt vmcnt(0)
	v_xor_b32_e32 v7, v11, v12
	v_ffbh_i32_e32 v1, v12
	v_ashrrev_i32_e32 v7, 31, v7
	v_add_u32_e32 v1, -1, v1
	v_add_u32_e32 v7, 32, v7
	v_min_u32_e32 v1, v1, v7
	v_lshlrev_b64 v[11:12], v1, v[11:12]
	v_sub_u32_e32 v1, 32, v1
	v_min_u32_e32 v7, 1, v11
	v_or_b32_e32 v7, v12, v7
	v_cvt_f32_i32_e32 v7, v7
	v_ldexp_f32 v1, v7, v1
	s_branch .LBB15_1524
.LBB15_1521:
	s_mov_b64 s[0:1], -1
                                        ; implicit-def: $vgpr1
	s_branch .LBB15_1530
.LBB15_1522:
	s_mov_b64 s[0:1], -1
                                        ; implicit-def: $vgpr1
	s_branch .LBB15_1527
.LBB15_1523:
	s_mov_b64 s[0:1], -1
                                        ; implicit-def: $vgpr1
.LBB15_1524:
	s_andn2_b64 vcc, exec, s[0:1]
	s_cbranch_vccnz .LBB15_1526
; %bb.1525:
	global_load_dword v1, v[9:10], off
	s_waitcnt vmcnt(0)
	v_cvt_f32_i32_e32 v1, v1
.LBB15_1526:
	s_mov_b64 s[0:1], 0
.LBB15_1527:
	s_andn2_b64 vcc, exec, s[0:1]
	s_cbranch_vccnz .LBB15_1529
; %bb.1528:
	global_load_sshort v1, v[9:10], off
	s_waitcnt vmcnt(0)
	v_cvt_f32_i32_e32 v1, v1
.LBB15_1529:
	s_mov_b64 s[0:1], 0
.LBB15_1530:
	s_andn2_b64 vcc, exec, s[0:1]
	s_cbranch_vccnz .LBB15_1536
; %bb.1531:
	s_cmp_gt_i32 s4, 0
	s_cbranch_scc0 .LBB15_1533
; %bb.1532:
	global_load_sbyte v1, v[9:10], off
	s_mov_b64 s[0:1], 0
	s_waitcnt vmcnt(0)
	v_cvt_f32_i32_e32 v1, v1
	s_branch .LBB15_1534
.LBB15_1533:
	s_mov_b64 s[0:1], -1
                                        ; implicit-def: $vgpr1
.LBB15_1534:
	s_andn2_b64 vcc, exec, s[0:1]
	s_cbranch_vccnz .LBB15_1536
; %bb.1535:
	global_load_ubyte v1, v[9:10], off
	s_waitcnt vmcnt(0)
	v_cvt_f32_ubyte0_e32 v1, v1
.LBB15_1536:
.LBB15_1537:
	s_waitcnt vmcnt(0)
	v_cmp_lt_f32_e32 vcc, s16, v1
	v_mov_b32_e32 v7, 1.0
	s_and_saveexec_b64 s[0:1], vcc
	s_cbranch_execz .LBB15_1539
; %bb.1538:
	v_add_f32_e32 v1, 0x33d6bf95, v1
	v_div_scale_f32 v7, s[4:5], v1, v1, s16
	v_div_scale_f32 v9, vcc, s16, v1, s16
	v_rcp_f32_e32 v10, v7
	v_fma_f32 v11, -v7, v10, 1.0
	v_fmac_f32_e32 v10, v11, v10
	v_mul_f32_e32 v11, v9, v10
	v_fma_f32 v12, -v7, v11, v9
	v_fmac_f32_e32 v11, v12, v10
	v_fma_f32 v7, -v7, v11, v9
	v_div_fmas_f32 v7, v7, v10, v11
	v_div_fixup_f32 v7, v7, v1, s16
.LBB15_1539:
	s_or_b64 exec, exec, s[0:1]
	v_mov_b32_e32 v1, s11
	v_add_co_u32_e32 v8, vcc, s10, v8
	s_cmp_lt_i32 s17, 11
	v_addc_co_u32_e32 v9, vcc, 0, v1, vcc
	s_cbranch_scc1 .LBB15_1546
; %bb.1540:
	s_and_b32 s14, 0xffff, s17
	s_cmp_gt_i32 s14, 25
	s_mov_b64 s[4:5], 0
	s_cbranch_scc0 .LBB15_1547
; %bb.1541:
	s_cmp_gt_i32 s14, 28
	s_cbranch_scc0 .LBB15_1548
; %bb.1542:
	s_cmp_gt_i32 s14, 43
	;; [unrolled: 3-line block ×3, first 2 shown]
	s_cbranch_scc0 .LBB15_1551
; %bb.1544:
	s_cmp_eq_u32 s14, 46
	s_mov_b64 s[10:11], 0
	s_cbranch_scc0 .LBB15_1552
; %bb.1545:
	global_load_dword v1, v[8:9], off
	s_mov_b64 s[0:1], 0
	s_mov_b64 s[6:7], -1
	s_waitcnt vmcnt(0)
	v_lshlrev_b32_e32 v10, 16, v1
	s_branch .LBB15_1553
.LBB15_1546:
	s_mov_b64 s[0:1], -1
	s_mov_b64 s[6:7], 0
                                        ; implicit-def: $vgpr10
	s_branch .LBB15_1619
.LBB15_1547:
	s_mov_b64 s[10:11], -1
	s_mov_b64 s[6:7], 0
	s_mov_b64 s[0:1], 0
                                        ; implicit-def: $vgpr10
	s_branch .LBB15_1582
.LBB15_1548:
	s_mov_b64 s[10:11], -1
	s_mov_b64 s[6:7], 0
	s_mov_b64 s[0:1], 0
                                        ; implicit-def: $vgpr10
	s_branch .LBB15_1563
.LBB15_1549:
	s_mov_b64 s[10:11], -1
	s_mov_b64 s[6:7], 0
	s_mov_b64 s[0:1], 0
                                        ; implicit-def: $vgpr10
	s_branch .LBB15_1558
.LBB15_1550:
	s_trap 2
	s_or_b64 s[2:3], s[2:3], exec
	s_cbranch_execz .LBB15_1487
	s_branch .LBB15_1488
.LBB15_1551:
	s_mov_b64 s[10:11], -1
	s_mov_b64 s[6:7], 0
	s_mov_b64 s[0:1], 0
                                        ; implicit-def: $vgpr10
	s_branch .LBB15_1553
.LBB15_1552:
	s_mov_b64 s[0:1], -1
                                        ; implicit-def: $vgpr10
	s_mov_b64 s[6:7], 0
.LBB15_1553:
	s_and_b64 vcc, exec, s[10:11]
	s_cbranch_vccz .LBB15_1557
; %bb.1554:
	s_cmp_eq_u32 s14, 44
	s_cbranch_scc0 .LBB15_1556
; %bb.1555:
	global_load_ubyte v1, v[8:9], off
	s_movk_i32 s6, 0xff
	v_mov_b32_e32 v10, 0x7f800001
	v_mov_b32_e32 v11, 0x400000
	s_mov_b64 s[0:1], 0
	s_waitcnt vmcnt(0)
	v_lshlrev_b32_e32 v12, 23, v1
	v_cmp_ne_u32_e32 vcc, s6, v1
	v_cndmask_b32_e32 v10, v10, v12, vcc
	v_cmp_ne_u32_e32 vcc, 0, v1
	v_cndmask_b32_e32 v10, v11, v10, vcc
	s_mov_b64 s[6:7], -1
	s_branch .LBB15_1557
.LBB15_1556:
	s_mov_b64 s[0:1], -1
                                        ; implicit-def: $vgpr10
.LBB15_1557:
	s_mov_b64 s[10:11], 0
.LBB15_1558:
	s_and_b64 vcc, exec, s[10:11]
	s_cbranch_vccz .LBB15_1562
; %bb.1559:
	s_cmp_eq_u32 s14, 29
	s_cbranch_scc0 .LBB15_1561
; %bb.1560:
	global_load_dwordx2 v[10:11], v[8:9], off
	s_mov_b64 s[0:1], 0
	s_mov_b64 s[6:7], -1
	s_mov_b64 s[10:11], 0
	s_waitcnt vmcnt(0)
	v_ffbh_u32_e32 v1, v11
	v_min_u32_e32 v1, 32, v1
	v_lshlrev_b64 v[10:11], v1, v[10:11]
	v_sub_u32_e32 v1, 32, v1
	v_min_u32_e32 v10, 1, v10
	v_or_b32_e32 v10, v11, v10
	v_cvt_f32_u32_e32 v10, v10
	v_ldexp_f32 v10, v10, v1
	s_branch .LBB15_1563
.LBB15_1561:
	s_mov_b64 s[0:1], -1
                                        ; implicit-def: $vgpr10
.LBB15_1562:
	s_mov_b64 s[10:11], 0
.LBB15_1563:
	s_and_b64 vcc, exec, s[10:11]
	s_cbranch_vccz .LBB15_1581
; %bb.1564:
	s_cmp_lt_i32 s14, 27
	s_cbranch_scc1 .LBB15_1567
; %bb.1565:
	s_cmp_gt_i32 s14, 27
	s_cbranch_scc0 .LBB15_1568
; %bb.1566:
	global_load_dword v1, v[8:9], off
	s_mov_b64 s[6:7], 0
	s_waitcnt vmcnt(0)
	v_cvt_f32_u32_e32 v10, v1
	s_branch .LBB15_1569
.LBB15_1567:
	s_mov_b64 s[6:7], -1
                                        ; implicit-def: $vgpr10
	s_branch .LBB15_1572
.LBB15_1568:
	s_mov_b64 s[6:7], -1
                                        ; implicit-def: $vgpr10
.LBB15_1569:
	s_andn2_b64 vcc, exec, s[6:7]
	s_cbranch_vccnz .LBB15_1571
; %bb.1570:
	global_load_ushort v1, v[8:9], off
	s_waitcnt vmcnt(0)
	v_cvt_f32_u32_e32 v10, v1
.LBB15_1571:
	s_mov_b64 s[6:7], 0
.LBB15_1572:
	s_andn2_b64 vcc, exec, s[6:7]
	s_cbranch_vccnz .LBB15_1580
; %bb.1573:
	global_load_ubyte v1, v[8:9], off
	s_movk_i32 s6, 0x7f
	s_waitcnt vmcnt(0)
	v_cmp_lt_i16_e32 vcc, s6, v1
	s_mov_b64 s[6:7], 0
	s_and_saveexec_b64 s[10:11], vcc
	s_xor_b64 s[10:11], exec, s[10:11]
	s_cbranch_execz .LBB15_1594
; %bb.1574:
	s_movk_i32 s6, 0x80
	v_cmp_eq_u16_e32 vcc, s6, v1
	s_mov_b64 s[6:7], -1
	s_and_saveexec_b64 s[12:13], vcc
; %bb.1575:
	s_xor_b64 s[6:7], exec, -1
; %bb.1576:
	s_or_b64 exec, exec, s[12:13]
	s_and_b64 s[6:7], s[6:7], exec
	s_or_saveexec_b64 s[10:11], s[10:11]
	v_mov_b32_e32 v10, 0x7f800001
	s_xor_b64 exec, exec, s[10:11]
	s_cbranch_execnz .LBB15_1595
.LBB15_1577:
	s_or_b64 exec, exec, s[10:11]
	s_and_saveexec_b64 s[10:11], s[6:7]
	s_cbranch_execz .LBB15_1579
.LBB15_1578:
	v_lshlrev_b32_e32 v10, 24, v1
	v_and_b32_e32 v1, 0xffff, v1
	v_and_b32_e32 v11, 7, v1
	v_ffbh_u32_e32 v13, v11
	v_min_u32_e32 v13, 32, v13
	v_subrev_u32_e32 v14, 28, v13
	v_bfe_u32 v12, v1, 3, 4
	v_lshlrev_b32_e32 v1, v14, v1
	v_sub_u32_e32 v13, 29, v13
	v_and_b32_e32 v1, 7, v1
	v_cmp_eq_u32_e32 vcc, 0, v12
	v_cndmask_b32_e32 v12, v12, v13, vcc
	v_cndmask_b32_e32 v1, v11, v1, vcc
	v_mov_b32_e32 v11, 0x3b800000
	v_lshlrev_b32_e32 v1, 20, v1
	v_and_b32_e32 v10, 0x80000000, v10
	v_lshl_add_u32 v11, v12, 23, v11
	v_or3_b32 v10, v10, v11, v1
.LBB15_1579:
	s_or_b64 exec, exec, s[10:11]
.LBB15_1580:
	s_mov_b64 s[6:7], -1
.LBB15_1581:
	s_mov_b64 s[10:11], 0
.LBB15_1582:
	s_and_b64 vcc, exec, s[10:11]
	s_cbranch_vccz .LBB15_1615
; %bb.1583:
	s_cmp_gt_i32 s14, 22
	s_cbranch_scc0 .LBB15_1593
; %bb.1584:
	s_cmp_lt_i32 s14, 24
	s_cbranch_scc1 .LBB15_1596
; %bb.1585:
	s_cmp_gt_i32 s14, 24
	s_cbranch_scc0 .LBB15_1597
; %bb.1586:
	global_load_ubyte v1, v[8:9], off
	s_movk_i32 s4, 0x7f
	s_waitcnt vmcnt(0)
	v_cmp_lt_i16_e32 vcc, s4, v1
	s_mov_b64 s[4:5], 0
	s_and_saveexec_b64 s[6:7], vcc
	s_xor_b64 s[6:7], exec, s[6:7]
	s_cbranch_execz .LBB15_1609
; %bb.1587:
	s_movk_i32 s4, 0x80
	v_cmp_eq_u16_e32 vcc, s4, v1
	s_mov_b64 s[4:5], -1
	s_and_saveexec_b64 s[10:11], vcc
; %bb.1588:
	s_xor_b64 s[4:5], exec, -1
; %bb.1589:
	s_or_b64 exec, exec, s[10:11]
	s_and_b64 s[4:5], s[4:5], exec
	s_or_saveexec_b64 s[6:7], s[6:7]
	v_mov_b32_e32 v10, 0x7f800001
	s_xor_b64 exec, exec, s[6:7]
	s_cbranch_execnz .LBB15_1610
.LBB15_1590:
	s_or_b64 exec, exec, s[6:7]
	s_and_saveexec_b64 s[6:7], s[4:5]
	s_cbranch_execz .LBB15_1592
.LBB15_1591:
	v_lshlrev_b32_e32 v10, 24, v1
	v_and_b32_e32 v1, 0xffff, v1
	v_and_b32_e32 v11, 3, v1
	v_ffbh_u32_e32 v13, v11
	v_min_u32_e32 v13, 32, v13
	v_subrev_u32_e32 v14, 29, v13
	v_bfe_u32 v12, v1, 2, 5
	v_lshlrev_b32_e32 v1, v14, v1
	v_sub_u32_e32 v13, 30, v13
	v_and_b32_e32 v1, 3, v1
	v_cmp_eq_u32_e32 vcc, 0, v12
	v_cndmask_b32_e32 v12, v12, v13, vcc
	v_cndmask_b32_e32 v1, v11, v1, vcc
	v_mov_b32_e32 v11, 0x37800000
	v_lshlrev_b32_e32 v1, 21, v1
	v_and_b32_e32 v10, 0x80000000, v10
	v_lshl_add_u32 v11, v12, 23, v11
	v_or3_b32 v10, v10, v11, v1
.LBB15_1592:
	s_or_b64 exec, exec, s[6:7]
	s_mov_b64 s[4:5], 0
	s_branch .LBB15_1598
.LBB15_1593:
	s_mov_b64 s[4:5], -1
                                        ; implicit-def: $vgpr10
	s_branch .LBB15_1604
.LBB15_1594:
	s_or_saveexec_b64 s[10:11], s[10:11]
	v_mov_b32_e32 v10, 0x7f800001
	s_xor_b64 exec, exec, s[10:11]
	s_cbranch_execz .LBB15_1577
.LBB15_1595:
	v_cmp_ne_u16_e32 vcc, 0, v1
	s_andn2_b64 s[6:7], s[6:7], exec
	s_and_b64 s[12:13], vcc, exec
	v_mov_b32_e32 v10, 0
	s_or_b64 s[6:7], s[6:7], s[12:13]
	s_or_b64 exec, exec, s[10:11]
	s_and_saveexec_b64 s[10:11], s[6:7]
	s_cbranch_execnz .LBB15_1578
	s_branch .LBB15_1579
.LBB15_1596:
	s_mov_b64 s[4:5], -1
                                        ; implicit-def: $vgpr10
	s_branch .LBB15_1601
.LBB15_1597:
	s_mov_b64 s[4:5], -1
                                        ; implicit-def: $vgpr10
.LBB15_1598:
	s_and_b64 vcc, exec, s[4:5]
	s_cbranch_vccz .LBB15_1600
; %bb.1599:
	global_load_ubyte v1, v[8:9], off
	s_mov_b32 s4, 0x7f800000
	s_waitcnt vmcnt(0)
	v_lshlrev_b32_e32 v1, 24, v1
	v_and_b32_e32 v10, 0x7f000000, v1
	v_ffbh_u32_e32 v11, v10
	v_min_u32_e32 v11, 32, v11
	v_sub_u32_e64 v11, v11, 4 clamp
	v_lshlrev_b32_e32 v13, v11, v10
	v_lshlrev_b32_e32 v11, 23, v11
	v_lshrrev_b32_e32 v13, 4, v13
	v_add_u32_e32 v12, 0x1000000, v10
	v_sub_u32_e32 v11, v13, v11
	v_ashrrev_i32_e32 v12, 8, v12
	v_add_u32_e32 v11, 0x3c000000, v11
	v_and_or_b32 v11, v12, s4, v11
	v_cmp_ne_u32_e32 vcc, 0, v10
	v_cndmask_b32_e32 v10, 0, v11, vcc
	s_brev_b32 s4, 1
	v_and_or_b32 v10, v1, s4, v10
.LBB15_1600:
	s_mov_b64 s[4:5], 0
.LBB15_1601:
	s_andn2_b64 vcc, exec, s[4:5]
	s_cbranch_vccnz .LBB15_1603
; %bb.1602:
	global_load_ubyte v1, v[8:9], off
	s_movk_i32 s4, 0x7f00
	s_brev_b32 s5, 16
	s_waitcnt vmcnt(0)
	v_lshlrev_b16_e32 v10, 8, v1
	v_lshlrev_b32_e32 v1, 25, v1
	v_lshrrev_b32_e32 v11, 4, v1
	v_and_or_b32 v12, v10, s4, 0.5
	v_or_b32_e32 v11, 0x70000000, v11
	v_add_f32_e32 v12, -0.5, v12
	v_mul_f32_e32 v11, 0x7800000, v11
	v_cmp_gt_u32_e32 vcc, s5, v1
	v_bfe_i32 v10, v10, 0, 16
	v_cndmask_b32_e32 v1, v11, v12, vcc
	s_brev_b32 s4, 1
	v_and_or_b32 v10, v10, s4, v1
.LBB15_1603:
	s_mov_b64 s[4:5], 0
	s_mov_b64 s[6:7], -1
.LBB15_1604:
	s_andn2_b64 vcc, exec, s[4:5]
	s_mov_b64 s[4:5], 0
	s_cbranch_vccnz .LBB15_1615
; %bb.1605:
	s_cmp_gt_i32 s14, 14
	s_cbranch_scc0 .LBB15_1608
; %bb.1606:
	s_cmp_eq_u32 s14, 15
	s_cbranch_scc0 .LBB15_1611
; %bb.1607:
	global_load_ushort v1, v[8:9], off
	s_mov_b64 s[0:1], 0
	s_mov_b64 s[6:7], -1
	s_waitcnt vmcnt(0)
	v_lshlrev_b32_e32 v10, 16, v1
	s_branch .LBB15_1612
.LBB15_1608:
	s_mov_b64 s[10:11], -1
                                        ; implicit-def: $vgpr10
	s_branch .LBB15_1613
.LBB15_1609:
	s_or_saveexec_b64 s[6:7], s[6:7]
	v_mov_b32_e32 v10, 0x7f800001
	s_xor_b64 exec, exec, s[6:7]
	s_cbranch_execz .LBB15_1590
.LBB15_1610:
	v_cmp_ne_u16_e32 vcc, 0, v1
	s_andn2_b64 s[4:5], s[4:5], exec
	s_and_b64 s[10:11], vcc, exec
	v_mov_b32_e32 v10, 0
	s_or_b64 s[4:5], s[4:5], s[10:11]
	s_or_b64 exec, exec, s[6:7]
	s_and_saveexec_b64 s[6:7], s[4:5]
	s_cbranch_execnz .LBB15_1591
	s_branch .LBB15_1592
.LBB15_1611:
	s_mov_b64 s[0:1], -1
                                        ; implicit-def: $vgpr10
.LBB15_1612:
	s_mov_b64 s[10:11], 0
.LBB15_1613:
	s_and_b64 vcc, exec, s[10:11]
	s_cbranch_vccz .LBB15_1615
; %bb.1614:
	s_cmp_lg_u32 s14, 11
	s_mov_b64 s[4:5], -1
	s_cselect_b64 s[0:1], -1, 0
.LBB15_1615:
	s_and_b64 vcc, exec, s[0:1]
	s_cbranch_vccnz .LBB15_2152
; %bb.1616:
	s_andn2_b64 vcc, exec, s[4:5]
	s_cbranch_vccnz .LBB15_1618
.LBB15_1617:
	global_load_ubyte v1, v[8:9], off
	s_mov_b64 s[6:7], -1
	s_waitcnt vmcnt(0)
	v_cmp_ne_u16_e32 vcc, 0, v1
	v_cndmask_b32_e64 v10, 0, 1.0, vcc
.LBB15_1618:
	s_mov_b64 s[0:1], 0
.LBB15_1619:
	s_and_b64 vcc, exec, s[0:1]
	s_cbranch_vccz .LBB15_1668
; %bb.1620:
	s_and_b32 s4, 0xffff, s17
	s_cmp_lt_i32 s4, 5
	s_cbranch_scc1 .LBB15_1625
; %bb.1621:
	s_cmp_lt_i32 s4, 8
	s_cbranch_scc1 .LBB15_1626
; %bb.1622:
	;; [unrolled: 3-line block ×3, first 2 shown]
	s_cmp_gt_i32 s4, 9
	s_cbranch_scc0 .LBB15_1628
; %bb.1624:
	global_load_dwordx2 v[10:11], v[8:9], off
	s_mov_b64 s[0:1], 0
	s_waitcnt vmcnt(0)
	v_cvt_f32_f64_e32 v10, v[10:11]
	s_branch .LBB15_1629
.LBB15_1625:
	s_mov_b64 s[0:1], -1
                                        ; implicit-def: $vgpr10
	s_branch .LBB15_1647
.LBB15_1626:
	s_mov_b64 s[0:1], -1
                                        ; implicit-def: $vgpr10
	s_branch .LBB15_1635
.LBB15_1627:
	s_mov_b64 s[0:1], -1
                                        ; implicit-def: $vgpr10
	s_branch .LBB15_1632
.LBB15_1628:
	s_mov_b64 s[0:1], -1
                                        ; implicit-def: $vgpr10
.LBB15_1629:
	s_andn2_b64 vcc, exec, s[0:1]
	s_cbranch_vccnz .LBB15_1631
; %bb.1630:
	global_load_dword v10, v[8:9], off
.LBB15_1631:
	s_mov_b64 s[0:1], 0
.LBB15_1632:
	s_andn2_b64 vcc, exec, s[0:1]
	s_cbranch_vccnz .LBB15_1634
; %bb.1633:
	global_load_dword v1, v[8:9], off
	s_waitcnt vmcnt(0)
	v_cvt_f32_f16_e32 v10, v1
.LBB15_1634:
	s_mov_b64 s[0:1], 0
.LBB15_1635:
	s_andn2_b64 vcc, exec, s[0:1]
	s_cbranch_vccnz .LBB15_1646
; %bb.1636:
	s_cmp_lt_i32 s4, 6
	s_cbranch_scc1 .LBB15_1639
; %bb.1637:
	s_cmp_gt_i32 s4, 6
	s_cbranch_scc0 .LBB15_1640
; %bb.1638:
	global_load_dwordx2 v[10:11], v[8:9], off
	s_mov_b64 s[0:1], 0
	s_waitcnt vmcnt(0)
	v_cvt_f32_f64_e32 v10, v[10:11]
	s_branch .LBB15_1641
.LBB15_1639:
	s_mov_b64 s[0:1], -1
                                        ; implicit-def: $vgpr10
	s_branch .LBB15_1644
.LBB15_1640:
	s_mov_b64 s[0:1], -1
                                        ; implicit-def: $vgpr10
.LBB15_1641:
	s_andn2_b64 vcc, exec, s[0:1]
	s_cbranch_vccnz .LBB15_1643
; %bb.1642:
	global_load_dword v10, v[8:9], off
.LBB15_1643:
	s_mov_b64 s[0:1], 0
.LBB15_1644:
	s_andn2_b64 vcc, exec, s[0:1]
	s_cbranch_vccnz .LBB15_1646
; %bb.1645:
	global_load_ushort v1, v[8:9], off
	s_waitcnt vmcnt(0)
	v_cvt_f32_f16_e32 v10, v1
.LBB15_1646:
	s_mov_b64 s[0:1], 0
.LBB15_1647:
	s_andn2_b64 vcc, exec, s[0:1]
	s_cbranch_vccnz .LBB15_1667
; %bb.1648:
	s_cmp_lt_i32 s4, 2
	s_cbranch_scc1 .LBB15_1652
; %bb.1649:
	s_cmp_lt_i32 s4, 3
	s_cbranch_scc1 .LBB15_1653
; %bb.1650:
	s_cmp_gt_i32 s4, 3
	s_cbranch_scc0 .LBB15_1654
; %bb.1651:
	global_load_dwordx2 v[10:11], v[8:9], off
	s_mov_b64 s[0:1], 0
	s_waitcnt vmcnt(0)
	v_xor_b32_e32 v12, v10, v11
	v_ffbh_i32_e32 v1, v11
	v_ashrrev_i32_e32 v12, 31, v12
	v_add_u32_e32 v1, -1, v1
	v_add_u32_e32 v12, 32, v12
	v_min_u32_e32 v1, v1, v12
	v_lshlrev_b64 v[10:11], v1, v[10:11]
	v_sub_u32_e32 v1, 32, v1
	v_min_u32_e32 v10, 1, v10
	v_or_b32_e32 v10, v11, v10
	v_cvt_f32_i32_e32 v10, v10
	v_ldexp_f32 v10, v10, v1
	s_branch .LBB15_1655
.LBB15_1652:
	s_mov_b64 s[0:1], -1
                                        ; implicit-def: $vgpr10
	s_branch .LBB15_1661
.LBB15_1653:
	s_mov_b64 s[0:1], -1
                                        ; implicit-def: $vgpr10
	s_branch .LBB15_1658
.LBB15_1654:
	s_mov_b64 s[0:1], -1
                                        ; implicit-def: $vgpr10
.LBB15_1655:
	s_andn2_b64 vcc, exec, s[0:1]
	s_cbranch_vccnz .LBB15_1657
; %bb.1656:
	global_load_dword v1, v[8:9], off
	s_waitcnt vmcnt(0)
	v_cvt_f32_i32_e32 v10, v1
.LBB15_1657:
	s_mov_b64 s[0:1], 0
.LBB15_1658:
	s_andn2_b64 vcc, exec, s[0:1]
	s_cbranch_vccnz .LBB15_1660
; %bb.1659:
	global_load_sshort v1, v[8:9], off
	s_waitcnt vmcnt(0)
	v_cvt_f32_i32_e32 v10, v1
.LBB15_1660:
	s_mov_b64 s[0:1], 0
.LBB15_1661:
	s_andn2_b64 vcc, exec, s[0:1]
	s_cbranch_vccnz .LBB15_1667
; %bb.1662:
	s_cmp_gt_i32 s4, 0
	s_cbranch_scc0 .LBB15_1664
; %bb.1663:
	global_load_sbyte v1, v[8:9], off
	s_mov_b64 s[0:1], 0
	s_waitcnt vmcnt(0)
	v_cvt_f32_i32_e32 v10, v1
	s_branch .LBB15_1665
.LBB15_1664:
	s_mov_b64 s[0:1], -1
                                        ; implicit-def: $vgpr10
.LBB15_1665:
	s_andn2_b64 vcc, exec, s[0:1]
	s_cbranch_vccnz .LBB15_1667
; %bb.1666:
	global_load_ubyte v1, v[8:9], off
	s_waitcnt vmcnt(0)
	v_cvt_f32_ubyte0_e32 v10, v1
.LBB15_1667:
	s_mov_b64 s[6:7], -1
.LBB15_1668:
	s_andn2_b64 vcc, exec, s[6:7]
	s_cbranch_vccnz .LBB15_1749
; %bb.1669:
	s_waitcnt vmcnt(0)
	v_cmp_lt_f32_e32 vcc, s16, v10
	v_mov_b32_e32 v1, 1.0
	s_and_saveexec_b64 s[0:1], vcc
	s_cbranch_execz .LBB15_1671
; %bb.1670:
	v_add_f32_e32 v1, 0x33d6bf95, v10
	v_div_scale_f32 v8, s[4:5], v1, v1, s16
	v_div_scale_f32 v9, vcc, s16, v1, s16
	v_rcp_f32_e32 v10, v8
	v_fma_f32 v11, -v8, v10, 1.0
	v_fmac_f32_e32 v10, v11, v10
	v_mul_f32_e32 v11, v9, v10
	v_fma_f32 v12, -v8, v11, v9
	v_fmac_f32_e32 v11, v12, v10
	v_fma_f32 v8, -v8, v11, v9
	v_div_fmas_f32 v8, v8, v10, v11
	v_div_fixup_f32 v1, v8, v1, s16
.LBB15_1671:
	s_or_b64 exec, exec, s[0:1]
	s_load_dword s0, s[34:35], 0x15c
	v_mov_b32_e32 v9, s9
	v_add_co_u32_e32 v8, vcc, s8, v6
	v_addc_co_u32_e32 v9, vcc, 0, v9, vcc
	s_waitcnt lgkmcnt(0)
	s_and_b32 s14, s0, 0xff
	s_cmp_lt_i32 s14, 11
	s_cbranch_scc1 .LBB15_1795
; %bb.1672:
	s_and_b32 s15, 0xffff, s14
	s_mov_b64 s[10:11], -1
	s_mov_b64 s[4:5], 0
	s_cmp_gt_i32 s15, 25
	s_mov_b64 s[6:7], 0
	s_mov_b64 s[0:1], 0
	s_cbranch_scc0 .LBB15_1705
; %bb.1673:
	s_cmp_gt_i32 s15, 28
	s_cbranch_scc0 .LBB15_1688
; %bb.1674:
	s_cmp_gt_i32 s15, 43
	s_cbranch_scc0 .LBB15_1684
; %bb.1675:
	s_cmp_gt_i32 s15, 45
	s_cbranch_scc0 .LBB15_1678
; %bb.1676:
	s_mov_b64 s[0:1], -1
	s_mov_b64 s[10:11], 0
	s_cmp_eq_u32 s15, 46
	s_cbranch_scc0 .LBB15_1678
; %bb.1677:
	v_bfe_u32 v6, v5, 16, 1
	s_movk_i32 s0, 0x7fff
	v_add3_u32 v6, v5, v6, s0
	v_cmp_o_f32_e32 vcc, v5, v5
	v_mov_b32_e32 v10, 0x7fc0
	v_cndmask_b32_sdwa v6, v10, v6, vcc dst_sel:DWORD dst_unused:UNUSED_PAD src0_sel:DWORD src1_sel:WORD_1
	global_store_dword v[8:9], v6, off
	s_mov_b64 s[0:1], 0
	s_mov_b64 s[6:7], -1
.LBB15_1678:
	s_and_b64 vcc, exec, s[10:11]
	s_cbranch_vccz .LBB15_1683
; %bb.1679:
	s_cmp_eq_u32 s15, 44
	s_mov_b64 s[0:1], -1
	s_cbranch_scc0 .LBB15_1683
; %bb.1680:
	v_bfe_u32 v6, v5, 23, 8
	s_movk_i32 s0, 0xff
	v_cmp_ne_u32_e32 vcc, s0, v6
	v_mov_b32_e32 v10, 0xff
	s_and_saveexec_b64 s[6:7], vcc
; %bb.1681:
	s_mov_b32 s0, 0x3fffff
	v_and_b32_e32 v11, 0x400000, v5
	v_and_or_b32 v6, v5, s0, v6
	v_cmp_ne_u32_e32 vcc, 0, v11
	v_cmp_ne_u32_e64 s[0:1], 0, v6
	s_and_b64 s[0:1], vcc, s[0:1]
	v_lshrrev_b32_e32 v10, 23, v5
	v_cndmask_b32_e64 v6, 0, 1, s[0:1]
	v_add_u32_e32 v10, v10, v6
; %bb.1682:
	s_or_b64 exec, exec, s[6:7]
	s_mov_b64 s[0:1], 0
	s_mov_b64 s[6:7], -1
	global_store_byte v[8:9], v10, off
.LBB15_1683:
	s_mov_b64 s[10:11], 0
.LBB15_1684:
	s_and_b64 vcc, exec, s[10:11]
	s_cbranch_vccz .LBB15_1687
; %bb.1685:
	s_cmp_eq_u32 s15, 29
	s_mov_b64 s[0:1], -1
	s_cbranch_scc0 .LBB15_1687
; %bb.1686:
	v_trunc_f32_e32 v6, v5
	v_mul_f32_e32 v10, 0x2f800000, v6
	v_floor_f32_e32 v10, v10
	v_fmac_f32_e32 v6, 0xcf800000, v10
	v_cvt_u32_f32_e32 v11, v10
	v_cvt_u32_f32_e32 v10, v6
	s_mov_b64 s[0:1], 0
	s_mov_b64 s[6:7], -1
	global_store_dwordx2 v[8:9], v[10:11], off
.LBB15_1687:
	s_mov_b64 s[10:11], 0
.LBB15_1688:
	s_and_b64 vcc, exec, s[10:11]
	s_cbranch_vccz .LBB15_1704
; %bb.1689:
	s_cmp_lt_i32 s15, 27
	s_mov_b64 s[6:7], -1
	s_cbranch_scc1 .LBB15_1695
; %bb.1690:
	v_cvt_u32_f32_e32 v6, v5
	s_cmp_gt_i32 s15, 27
	s_cbranch_scc0 .LBB15_1692
; %bb.1691:
	s_mov_b64 s[6:7], 0
	global_store_dword v[8:9], v6, off
.LBB15_1692:
	s_andn2_b64 vcc, exec, s[6:7]
	s_cbranch_vccnz .LBB15_1694
; %bb.1693:
	global_store_short v[8:9], v6, off
.LBB15_1694:
	s_mov_b64 s[6:7], 0
.LBB15_1695:
	s_andn2_b64 vcc, exec, s[6:7]
	s_cbranch_vccnz .LBB15_1703
; %bb.1696:
	v_and_b32_e32 v6, 0x7fffffff, v5
	s_mov_b32 s6, 0x43800000
	v_cmp_gt_u32_e32 vcc, s6, v6
	v_mov_b32_e32 v10, 0x80
	s_and_saveexec_b64 s[6:7], vcc
	s_cbranch_execz .LBB15_1702
; %bb.1697:
	s_mov_b32 s10, 0x3bffffff
	v_cmp_lt_u32_e32 vcc, s10, v6
	s_mov_b64 s[10:11], 0
                                        ; implicit-def: $vgpr6
	s_and_saveexec_b64 s[12:13], vcc
	s_xor_b64 s[12:13], exec, s[12:13]
	s_cbranch_execz .LBB15_2153
; %bb.1698:
	v_bfe_u32 v6, v5, 20, 1
	s_mov_b32 s16, 0x487ffff
	v_add3_u32 v6, v5, v6, s16
	s_mov_b64 s[10:11], exec
	v_lshrrev_b32_e32 v6, 20, v6
	s_andn2_saveexec_b64 s[12:13], s[12:13]
	s_cbranch_execnz .LBB15_2154
.LBB15_1699:
	s_or_b64 exec, exec, s[12:13]
	v_mov_b32_e32 v10, 0
	s_and_saveexec_b64 s[12:13], s[10:11]
.LBB15_1700:
	v_lshrrev_b32_e32 v10, 24, v5
	s_movk_i32 s10, 0x80
	v_and_or_b32 v10, v10, s10, v6
.LBB15_1701:
	s_or_b64 exec, exec, s[12:13]
.LBB15_1702:
	s_or_b64 exec, exec, s[6:7]
	global_store_byte v[8:9], v10, off
.LBB15_1703:
	s_mov_b64 s[6:7], -1
.LBB15_1704:
	s_mov_b64 s[10:11], 0
.LBB15_1705:
	s_and_b64 vcc, exec, s[10:11]
	s_cbranch_vccz .LBB15_1745
; %bb.1706:
	s_cmp_gt_i32 s15, 22
	s_mov_b64 s[4:5], -1
	s_cbranch_scc0 .LBB15_1738
; %bb.1707:
	s_cmp_lt_i32 s15, 24
	s_cbranch_scc1 .LBB15_1727
; %bb.1708:
	s_cmp_gt_i32 s15, 24
	s_cbranch_scc0 .LBB15_1716
; %bb.1709:
	v_and_b32_e32 v6, 0x7fffffff, v5
	s_mov_b32 s4, 0x47800000
	v_cmp_gt_u32_e32 vcc, s4, v6
	v_mov_b32_e32 v10, 0x80
	s_and_saveexec_b64 s[4:5], vcc
	s_cbranch_execz .LBB15_1715
; %bb.1710:
	s_mov_b32 s6, 0x37ffffff
	v_cmp_lt_u32_e32 vcc, s6, v6
	s_mov_b64 s[6:7], 0
                                        ; implicit-def: $vgpr6
	s_and_saveexec_b64 s[10:11], vcc
	s_xor_b64 s[10:11], exec, s[10:11]
	s_cbranch_execz .LBB15_2156
; %bb.1711:
	v_bfe_u32 v6, v5, 21, 1
	s_mov_b32 s12, 0x88fffff
	v_add3_u32 v6, v5, v6, s12
	s_mov_b64 s[6:7], exec
	v_lshrrev_b32_e32 v6, 21, v6
	s_andn2_saveexec_b64 s[10:11], s[10:11]
	s_cbranch_execnz .LBB15_2157
.LBB15_1712:
	s_or_b64 exec, exec, s[10:11]
	v_mov_b32_e32 v10, 0
	s_and_saveexec_b64 s[10:11], s[6:7]
.LBB15_1713:
	v_lshrrev_b32_e32 v10, 24, v5
	s_movk_i32 s6, 0x80
	v_and_or_b32 v10, v10, s6, v6
.LBB15_1714:
	s_or_b64 exec, exec, s[10:11]
.LBB15_1715:
	s_or_b64 exec, exec, s[4:5]
	s_mov_b64 s[4:5], 0
	global_store_byte v[8:9], v10, off
.LBB15_1716:
	s_and_b64 vcc, exec, s[4:5]
	s_cbranch_vccz .LBB15_1726
; %bb.1717:
	v_and_b32_e32 v10, 0x7fffffff, v5
	s_mov_b32 s4, 0x43f00000
	v_cmp_gt_u32_e32 vcc, s4, v10
                                        ; implicit-def: $vgpr6
	s_and_saveexec_b64 s[4:5], vcc
	s_xor_b64 s[4:5], exec, s[4:5]
	s_cbranch_execz .LBB15_1723
; %bb.1718:
	s_mov_b32 s6, 0x3c7fffff
	v_cmp_lt_u32_e32 vcc, s6, v10
                                        ; implicit-def: $vgpr6
	s_and_saveexec_b64 s[6:7], vcc
	s_xor_b64 s[6:7], exec, s[6:7]
; %bb.1719:
	v_bfe_u32 v6, v5, 20, 1
	s_mov_b32 s10, 0x407ffff
	v_add3_u32 v6, v5, v6, s10
	v_lshrrev_b32_e32 v10, 20, v6
	v_and_b32_e32 v6, 0xff00000, v6
	s_mov_b32 s10, 0x7f00000
	v_mov_b32_e32 v11, 0x7e
	v_cmp_ne_u32_e32 vcc, s10, v6
	v_cndmask_b32_e32 v6, v11, v10, vcc
; %bb.1720:
	s_andn2_saveexec_b64 s[6:7], s[6:7]
; %bb.1721:
	s_mov_b32 s10, 0x46800000
	v_add_f32_e64 v6, |v5|, s10
; %bb.1722:
	s_or_b64 exec, exec, s[6:7]
                                        ; implicit-def: $vgpr10
.LBB15_1723:
	s_andn2_saveexec_b64 s[4:5], s[4:5]
; %bb.1724:
	s_mov_b32 s6, 0x7f800000
	v_mov_b32_e32 v6, 0x7e
	v_mov_b32_e32 v11, 0x7f
	v_cmp_lt_u32_e32 vcc, s6, v10
	v_cndmask_b32_e32 v6, v6, v11, vcc
; %bb.1725:
	s_or_b64 exec, exec, s[4:5]
	v_lshrrev_b32_e32 v10, 24, v5
	s_movk_i32 s4, 0x80
	v_and_or_b32 v6, v10, s4, v6
	global_store_byte v[8:9], v6, off
.LBB15_1726:
	s_mov_b64 s[4:5], 0
.LBB15_1727:
	s_andn2_b64 vcc, exec, s[4:5]
	s_cbranch_vccnz .LBB15_1737
; %bb.1728:
	v_and_b32_e32 v10, 0x7fffffff, v5
	s_mov_b32 s4, 0x47800000
	v_cmp_gt_u32_e32 vcc, s4, v10
                                        ; implicit-def: $vgpr6
	s_and_saveexec_b64 s[4:5], vcc
	s_xor_b64 s[4:5], exec, s[4:5]
	s_cbranch_execz .LBB15_1734
; %bb.1729:
	s_mov_b32 s6, 0x387fffff
	v_cmp_lt_u32_e32 vcc, s6, v10
                                        ; implicit-def: $vgpr6
	s_and_saveexec_b64 s[6:7], vcc
	s_xor_b64 s[6:7], exec, s[6:7]
; %bb.1730:
	v_bfe_u32 v6, v5, 21, 1
	s_mov_b32 s10, 0x80fffff
	v_add3_u32 v6, v5, v6, s10
	v_lshrrev_b32_e32 v6, 21, v6
; %bb.1731:
	s_andn2_saveexec_b64 s[6:7], s[6:7]
; %bb.1732:
	s_mov_b32 s10, 0x43000000
	v_add_f32_e64 v6, |v5|, s10
; %bb.1733:
	s_or_b64 exec, exec, s[6:7]
                                        ; implicit-def: $vgpr10
.LBB15_1734:
	s_andn2_saveexec_b64 s[4:5], s[4:5]
; %bb.1735:
	s_mov_b32 s6, 0x7f800000
	v_mov_b32_e32 v6, 0x7c
	v_mov_b32_e32 v11, 0x7f
	v_cmp_lt_u32_e32 vcc, s6, v10
	v_cndmask_b32_e32 v6, v6, v11, vcc
; %bb.1736:
	s_or_b64 exec, exec, s[4:5]
	v_lshrrev_b32_e32 v10, 24, v5
	s_movk_i32 s4, 0x80
	v_and_or_b32 v6, v10, s4, v6
	global_store_byte v[8:9], v6, off
.LBB15_1737:
	s_mov_b64 s[4:5], 0
	s_mov_b64 s[6:7], -1
.LBB15_1738:
	s_andn2_b64 vcc, exec, s[4:5]
	s_mov_b64 s[4:5], 0
	s_cbranch_vccnz .LBB15_1745
; %bb.1739:
	s_cmp_gt_i32 s15, 14
	s_mov_b64 s[10:11], -1
	s_cbranch_scc0 .LBB15_1743
; %bb.1740:
	s_cmp_eq_u32 s15, 15
	s_mov_b64 s[0:1], -1
	s_cbranch_scc0 .LBB15_1742
; %bb.1741:
	v_bfe_u32 v6, v5, 16, 1
	s_movk_i32 s0, 0x7fff
	v_add3_u32 v6, v5, v6, s0
	v_cmp_o_f32_e32 vcc, v5, v5
	v_mov_b32_e32 v10, 0x7fc0
	v_cndmask_b32_sdwa v6, v10, v6, vcc dst_sel:DWORD dst_unused:UNUSED_PAD src0_sel:DWORD src1_sel:WORD_1
	global_store_short v[8:9], v6, off
	s_mov_b64 s[0:1], 0
	s_mov_b64 s[6:7], -1
.LBB15_1742:
	s_mov_b64 s[10:11], 0
.LBB15_1743:
	s_and_b64 vcc, exec, s[10:11]
	s_cbranch_vccz .LBB15_1745
; %bb.1744:
	s_cmp_lg_u32 s15, 11
	s_mov_b64 s[4:5], -1
	s_cselect_b64 s[0:1], -1, 0
.LBB15_1745:
	s_and_b64 vcc, exec, s[0:1]
	s_cbranch_vccnz .LBB15_2155
; %bb.1746:
	s_andn2_b64 vcc, exec, s[4:5]
	s_cbranch_vccnz .LBB15_1748
.LBB15_1747:
	v_cmp_neq_f32_e32 vcc, 0, v5
	v_cndmask_b32_e64 v6, 0, 1, vcc
	s_mov_b64 s[6:7], -1
	global_store_byte v[8:9], v6, off
.LBB15_1748:
	s_mov_b64 s[0:1], 0
	s_branch .LBB15_1796
.LBB15_1749:
	s_mov_b64 s[0:1], 0
                                        ; implicit-def: $vgpr3_vgpr4
                                        ; implicit-def: $sgpr14
                                        ; implicit-def: $vgpr1
.LBB15_1750:
	s_mov_b64 s[4:5], 0
.LBB15_1751:
	s_and_b64 s[6:7], s[4:5], exec
	s_andn2_b64 s[4:5], s[28:29], exec
	s_and_b64 s[2:3], s[2:3], exec
	s_and_b64 s[0:1], s[0:1], exec
	s_or_b64 s[28:29], s[4:5], s[2:3]
.LBB15_1752:
	s_or_b64 exec, exec, s[30:31]
	s_and_saveexec_b64 s[2:3], s[28:29]
	s_cbranch_execz .LBB15_1755
; %bb.1753:
	; divergent unreachable
	s_or_b64 exec, exec, s[2:3]
	s_and_saveexec_b64 s[2:3], s[6:7]
	s_xor_b64 s[2:3], exec, s[2:3]
	s_cbranch_execnz .LBB15_1756
.LBB15_1754:
	s_or_b64 exec, exec, s[2:3]
	s_and_saveexec_b64 s[2:3], s[0:1]
	s_cbranch_execnz .LBB15_1757
	s_branch .LBB15_1794
.LBB15_1755:
	s_or_b64 exec, exec, s[2:3]
	s_and_saveexec_b64 s[2:3], s[6:7]
	s_xor_b64 s[2:3], exec, s[2:3]
	s_cbranch_execz .LBB15_1754
.LBB15_1756:
	s_waitcnt vmcnt(0)
	v_cmp_neq_f32_e32 vcc, 0, v1
	v_cndmask_b32_e64 v0, 0, 1, vcc
	global_store_byte v[3:4], v0, off
	s_or_b64 exec, exec, s[2:3]
	s_and_saveexec_b64 s[2:3], s[0:1]
	s_cbranch_execz .LBB15_1794
.LBB15_1757:
	s_sext_i32_i16 s2, s14
	s_cmp_lt_i32 s2, 5
	s_mov_b64 s[0:1], -1
	s_cbranch_scc1 .LBB15_1778
; %bb.1758:
	s_cmp_lt_i32 s2, 8
	s_cbranch_scc1 .LBB15_1768
; %bb.1759:
	s_cmp_lt_i32 s2, 9
	s_cbranch_scc1 .LBB15_1765
; %bb.1760:
	s_cmp_gt_i32 s2, 9
	s_cbranch_scc0 .LBB15_1762
; %bb.1761:
	s_waitcnt vmcnt(0)
	v_cvt_f64_f32_e32 v[5:6], v1
	v_mov_b32_e32 v7, 0
	v_mov_b32_e32 v8, v7
	s_mov_b64 s[0:1], 0
	global_store_dwordx4 v[3:4], v[5:8], off
.LBB15_1762:
	s_andn2_b64 vcc, exec, s[0:1]
	s_cbranch_vccnz .LBB15_1764
; %bb.1763:
	v_mov_b32_e32 v2, 0
	s_waitcnt vmcnt(0)
	global_store_dwordx2 v[3:4], v[1:2], off
.LBB15_1764:
	s_mov_b64 s[0:1], 0
.LBB15_1765:
	s_andn2_b64 vcc, exec, s[0:1]
	s_cbranch_vccnz .LBB15_1767
; %bb.1766:
	s_waitcnt vmcnt(0)
	v_cvt_f16_f32_e32 v0, v1
	global_store_dword v[3:4], v0, off
.LBB15_1767:
	s_mov_b64 s[0:1], 0
.LBB15_1768:
	s_andn2_b64 vcc, exec, s[0:1]
	s_cbranch_vccnz .LBB15_1777
; %bb.1769:
	s_sext_i32_i16 s2, s14
	s_cmp_lt_i32 s2, 6
	s_mov_b64 s[0:1], -1
	s_cbranch_scc1 .LBB15_1775
; %bb.1770:
	s_cmp_gt_i32 s2, 6
	s_cbranch_scc0 .LBB15_1772
; %bb.1771:
	s_waitcnt vmcnt(0)
	v_cvt_f64_f32_e32 v[5:6], v1
	s_mov_b64 s[0:1], 0
	global_store_dwordx2 v[3:4], v[5:6], off
.LBB15_1772:
	s_andn2_b64 vcc, exec, s[0:1]
	s_cbranch_vccnz .LBB15_1774
; %bb.1773:
	s_waitcnt vmcnt(0)
	global_store_dword v[3:4], v1, off
.LBB15_1774:
	s_mov_b64 s[0:1], 0
.LBB15_1775:
	s_andn2_b64 vcc, exec, s[0:1]
	s_cbranch_vccnz .LBB15_1777
; %bb.1776:
	s_waitcnt vmcnt(0)
	v_cvt_f16_f32_e32 v0, v1
	global_store_short v[3:4], v0, off
.LBB15_1777:
	s_mov_b64 s[0:1], 0
.LBB15_1778:
	s_andn2_b64 vcc, exec, s[0:1]
	s_cbranch_vccnz .LBB15_1794
; %bb.1779:
	s_sext_i32_i16 s2, s14
	s_cmp_lt_i32 s2, 2
	s_mov_b64 s[0:1], -1
	s_cbranch_scc1 .LBB15_1789
; %bb.1780:
	s_cmp_lt_i32 s2, 3
	s_cbranch_scc1 .LBB15_1786
; %bb.1781:
	s_cmp_gt_i32 s2, 3
	s_cbranch_scc0 .LBB15_1783
; %bb.1782:
	s_waitcnt vmcnt(0)
	v_trunc_f32_e32 v0, v1
	s_mov_b32 s0, 0x2f800000
	v_mul_f32_e64 v2, |v0|, s0
	v_floor_f32_e32 v2, v2
	s_mov_b32 s0, 0xcf800000
	v_cvt_u32_f32_e32 v5, v2
	v_fma_f32 v2, v2, s0, |v0|
	v_cvt_u32_f32_e32 v2, v2
	v_ashrrev_i32_e32 v0, 31, v0
	v_xor_b32_e32 v6, v5, v0
	s_mov_b64 s[0:1], 0
	v_xor_b32_e32 v2, v2, v0
	v_sub_co_u32_e32 v5, vcc, v2, v0
	v_subb_co_u32_e32 v6, vcc, v6, v0, vcc
	global_store_dwordx2 v[3:4], v[5:6], off
.LBB15_1783:
	s_andn2_b64 vcc, exec, s[0:1]
	s_cbranch_vccnz .LBB15_1785
; %bb.1784:
	s_waitcnt vmcnt(0)
	v_cvt_i32_f32_e32 v0, v1
	global_store_dword v[3:4], v0, off
.LBB15_1785:
	s_mov_b64 s[0:1], 0
.LBB15_1786:
	s_andn2_b64 vcc, exec, s[0:1]
	s_cbranch_vccnz .LBB15_1788
; %bb.1787:
	s_waitcnt vmcnt(0)
	v_cvt_i32_f32_e32 v0, v1
	global_store_short v[3:4], v0, off
.LBB15_1788:
	s_mov_b64 s[0:1], 0
.LBB15_1789:
	s_andn2_b64 vcc, exec, s[0:1]
	s_cbranch_vccnz .LBB15_1794
; %bb.1790:
	s_sext_i32_i16 s0, s14
	s_cmp_gt_i32 s0, 0
	s_mov_b64 s[0:1], -1
	s_cbranch_scc0 .LBB15_1792
; %bb.1791:
	s_waitcnt vmcnt(0)
	v_cvt_i32_f32_e32 v0, v1
	s_mov_b64 s[0:1], 0
	global_store_byte v[3:4], v0, off
.LBB15_1792:
	s_andn2_b64 vcc, exec, s[0:1]
	s_cbranch_vccnz .LBB15_1794
; %bb.1793:
	s_waitcnt vmcnt(0)
	v_trunc_f32_e32 v0, v1
	s_mov_b32 s0, 0x2f800000
	v_mul_f32_e64 v1, |v0|, s0
	v_floor_f32_e32 v1, v1
	s_mov_b32 s0, 0xcf800000
	v_fma_f32 v1, v1, s0, |v0|
	v_cvt_u32_f32_e32 v1, v1
	v_ashrrev_i32_e32 v0, 31, v0
	v_xor_b32_e32 v1, v1, v0
	v_sub_u32_e32 v0, v1, v0
	global_store_byte v[3:4], v0, off
	s_endpgm
.LBB15_1794:
	s_endpgm
.LBB15_1795:
	s_mov_b64 s[0:1], -1
	s_mov_b64 s[6:7], 0
.LBB15_1796:
	s_and_b64 vcc, exec, s[0:1]
	s_cbranch_vccz .LBB15_1835
; %bb.1797:
	s_and_b32 s4, 0xffff, s14
	s_cmp_lt_i32 s4, 5
	s_mov_b64 s[0:1], -1
	s_cbranch_scc1 .LBB15_1818
; %bb.1798:
	s_cmp_lt_i32 s4, 8
	s_cbranch_scc1 .LBB15_1808
; %bb.1799:
	s_cmp_lt_i32 s4, 9
	s_cbranch_scc1 .LBB15_1805
; %bb.1800:
	s_cmp_gt_i32 s4, 9
	s_cbranch_scc0 .LBB15_1802
; %bb.1801:
	v_cvt_f64_f32_e32 v[10:11], v5
	v_mov_b32_e32 v12, 0
	v_mov_b32_e32 v13, v12
	s_mov_b64 s[0:1], 0
	global_store_dwordx4 v[8:9], v[10:13], off
.LBB15_1802:
	s_andn2_b64 vcc, exec, s[0:1]
	s_cbranch_vccnz .LBB15_1804
; %bb.1803:
	v_mov_b32_e32 v6, 0
	global_store_dwordx2 v[8:9], v[5:6], off
.LBB15_1804:
	s_mov_b64 s[0:1], 0
.LBB15_1805:
	s_andn2_b64 vcc, exec, s[0:1]
	s_cbranch_vccnz .LBB15_1807
; %bb.1806:
	v_cvt_f16_f32_e32 v6, v5
	global_store_dword v[8:9], v6, off
.LBB15_1807:
	s_mov_b64 s[0:1], 0
.LBB15_1808:
	s_andn2_b64 vcc, exec, s[0:1]
	s_cbranch_vccnz .LBB15_1817
; %bb.1809:
	s_cmp_lt_i32 s4, 6
	s_mov_b64 s[0:1], -1
	s_cbranch_scc1 .LBB15_1815
; %bb.1810:
	s_cmp_gt_i32 s4, 6
	s_cbranch_scc0 .LBB15_1812
; %bb.1811:
	v_cvt_f64_f32_e32 v[10:11], v5
	s_mov_b64 s[0:1], 0
	global_store_dwordx2 v[8:9], v[10:11], off
.LBB15_1812:
	s_andn2_b64 vcc, exec, s[0:1]
	s_cbranch_vccnz .LBB15_1814
; %bb.1813:
	global_store_dword v[8:9], v5, off
.LBB15_1814:
	s_mov_b64 s[0:1], 0
.LBB15_1815:
	s_andn2_b64 vcc, exec, s[0:1]
	s_cbranch_vccnz .LBB15_1817
; %bb.1816:
	v_cvt_f16_f32_e32 v6, v5
	global_store_short v[8:9], v6, off
.LBB15_1817:
	s_mov_b64 s[0:1], 0
.LBB15_1818:
	s_andn2_b64 vcc, exec, s[0:1]
	s_cbranch_vccnz .LBB15_1834
; %bb.1819:
	s_cmp_lt_i32 s4, 2
	s_mov_b64 s[0:1], -1
	s_cbranch_scc1 .LBB15_1829
; %bb.1820:
	s_cmp_lt_i32 s4, 3
	s_cbranch_scc1 .LBB15_1826
; %bb.1821:
	s_cmp_gt_i32 s4, 3
	s_cbranch_scc0 .LBB15_1823
; %bb.1822:
	v_trunc_f32_e32 v6, v5
	s_mov_b32 s0, 0x2f800000
	v_mul_f32_e64 v10, |v6|, s0
	v_floor_f32_e32 v10, v10
	s_mov_b32 s0, 0xcf800000
	v_cvt_u32_f32_e32 v11, v10
	v_fma_f32 v10, v10, s0, |v6|
	v_cvt_u32_f32_e32 v10, v10
	v_ashrrev_i32_e32 v6, 31, v6
	v_xor_b32_e32 v11, v11, v6
	s_mov_b64 s[0:1], 0
	v_xor_b32_e32 v10, v10, v6
	v_sub_co_u32_e32 v10, vcc, v10, v6
	v_subb_co_u32_e32 v11, vcc, v11, v6, vcc
	global_store_dwordx2 v[8:9], v[10:11], off
.LBB15_1823:
	s_andn2_b64 vcc, exec, s[0:1]
	s_cbranch_vccnz .LBB15_1825
; %bb.1824:
	v_cvt_i32_f32_e32 v6, v5
	global_store_dword v[8:9], v6, off
.LBB15_1825:
	s_mov_b64 s[0:1], 0
.LBB15_1826:
	s_andn2_b64 vcc, exec, s[0:1]
	s_cbranch_vccnz .LBB15_1828
; %bb.1827:
	v_cvt_i32_f32_e32 v6, v5
	global_store_short v[8:9], v6, off
.LBB15_1828:
	s_mov_b64 s[0:1], 0
.LBB15_1829:
	s_andn2_b64 vcc, exec, s[0:1]
	s_cbranch_vccnz .LBB15_1834
; %bb.1830:
	s_cmp_gt_i32 s4, 0
	s_mov_b64 s[0:1], -1
	s_cbranch_scc0 .LBB15_1832
; %bb.1831:
	v_cvt_i32_f32_e32 v6, v5
	s_mov_b64 s[0:1], 0
	global_store_byte v[8:9], v6, off
.LBB15_1832:
	s_andn2_b64 vcc, exec, s[0:1]
	s_cbranch_vccnz .LBB15_1834
; %bb.1833:
	v_trunc_f32_e32 v5, v5
	s_mov_b32 s0, 0x2f800000
	v_mul_f32_e64 v6, |v5|, s0
	v_floor_f32_e32 v6, v6
	s_mov_b32 s0, 0xcf800000
	v_fma_f32 v6, v6, s0, |v5|
	v_cvt_u32_f32_e32 v6, v6
	v_ashrrev_i32_e32 v5, 31, v5
	v_xor_b32_e32 v6, v6, v5
	v_sub_u32_e32 v5, v6, v5
	global_store_byte v[8:9], v5, off
.LBB15_1834:
	s_mov_b64 s[6:7], -1
.LBB15_1835:
	s_andn2_b64 vcc, exec, s[6:7]
	s_cbranch_vccnz .LBB15_2150
; %bb.1836:
	v_mov_b32_e32 v6, s9
	s_and_b32 s15, 0xffff, s14
	v_add_co_u32_e32 v5, vcc, s8, v4
	s_cmp_lt_i32 s15, 11
	v_addc_co_u32_e32 v6, vcc, 0, v6, vcc
	s_cbranch_scc1 .LBB15_1914
; %bb.1837:
	s_mov_b64 s[10:11], -1
	s_mov_b64 s[4:5], 0
	s_cmp_gt_i32 s15, 25
	s_mov_b64 s[6:7], 0
	s_mov_b64 s[0:1], 0
	s_cbranch_scc0 .LBB15_1870
; %bb.1838:
	s_cmp_gt_i32 s15, 28
	s_cbranch_scc0 .LBB15_1853
; %bb.1839:
	s_cmp_gt_i32 s15, 43
	s_cbranch_scc0 .LBB15_1849
; %bb.1840:
	s_cmp_gt_i32 s15, 45
	s_cbranch_scc0 .LBB15_1843
; %bb.1841:
	s_mov_b64 s[0:1], -1
	s_mov_b64 s[10:11], 0
	s_cmp_eq_u32 s15, 46
	s_cbranch_scc0 .LBB15_1843
; %bb.1842:
	v_bfe_u32 v4, v3, 16, 1
	s_movk_i32 s0, 0x7fff
	v_add3_u32 v4, v3, v4, s0
	v_cmp_o_f32_e32 vcc, v3, v3
	v_mov_b32_e32 v8, 0x7fc0
	v_cndmask_b32_sdwa v4, v8, v4, vcc dst_sel:DWORD dst_unused:UNUSED_PAD src0_sel:DWORD src1_sel:WORD_1
	global_store_dword v[5:6], v4, off
	s_mov_b64 s[0:1], 0
	s_mov_b64 s[6:7], -1
.LBB15_1843:
	s_and_b64 vcc, exec, s[10:11]
	s_cbranch_vccz .LBB15_1848
; %bb.1844:
	s_cmp_eq_u32 s15, 44
	s_mov_b64 s[0:1], -1
	s_cbranch_scc0 .LBB15_1848
; %bb.1845:
	v_bfe_u32 v4, v3, 23, 8
	s_movk_i32 s0, 0xff
	v_cmp_ne_u32_e32 vcc, s0, v4
	v_mov_b32_e32 v8, 0xff
	s_and_saveexec_b64 s[6:7], vcc
; %bb.1846:
	s_mov_b32 s0, 0x3fffff
	v_and_b32_e32 v9, 0x400000, v3
	v_and_or_b32 v4, v3, s0, v4
	v_cmp_ne_u32_e32 vcc, 0, v9
	v_cmp_ne_u32_e64 s[0:1], 0, v4
	s_and_b64 s[0:1], vcc, s[0:1]
	v_lshrrev_b32_e32 v8, 23, v3
	v_cndmask_b32_e64 v4, 0, 1, s[0:1]
	v_add_u32_e32 v8, v8, v4
; %bb.1847:
	s_or_b64 exec, exec, s[6:7]
	s_mov_b64 s[0:1], 0
	s_mov_b64 s[6:7], -1
	global_store_byte v[5:6], v8, off
.LBB15_1848:
	s_mov_b64 s[10:11], 0
.LBB15_1849:
	s_and_b64 vcc, exec, s[10:11]
	s_cbranch_vccz .LBB15_1852
; %bb.1850:
	s_cmp_eq_u32 s15, 29
	s_mov_b64 s[0:1], -1
	s_cbranch_scc0 .LBB15_1852
; %bb.1851:
	v_trunc_f32_e32 v4, v3
	v_mul_f32_e32 v8, 0x2f800000, v4
	v_floor_f32_e32 v8, v8
	v_fmac_f32_e32 v4, 0xcf800000, v8
	v_cvt_u32_f32_e32 v9, v8
	v_cvt_u32_f32_e32 v8, v4
	s_mov_b64 s[0:1], 0
	s_mov_b64 s[6:7], -1
	global_store_dwordx2 v[5:6], v[8:9], off
.LBB15_1852:
	s_mov_b64 s[10:11], 0
.LBB15_1853:
	s_and_b64 vcc, exec, s[10:11]
	s_cbranch_vccz .LBB15_1869
; %bb.1854:
	s_cmp_lt_i32 s15, 27
	s_mov_b64 s[6:7], -1
	s_cbranch_scc1 .LBB15_1860
; %bb.1855:
	s_cmp_gt_i32 s15, 27
	s_cbranch_scc0 .LBB15_1857
; %bb.1856:
	v_cvt_u32_f32_e32 v4, v3
	s_mov_b64 s[6:7], 0
	global_store_dword v[5:6], v4, off
.LBB15_1857:
	s_andn2_b64 vcc, exec, s[6:7]
	s_cbranch_vccnz .LBB15_1859
; %bb.1858:
	v_cvt_u32_f32_e32 v4, v3
	global_store_short v[5:6], v4, off
.LBB15_1859:
	s_mov_b64 s[6:7], 0
.LBB15_1860:
	s_andn2_b64 vcc, exec, s[6:7]
	s_cbranch_vccnz .LBB15_1868
; %bb.1861:
	v_and_b32_e32 v4, 0x7fffffff, v3
	s_mov_b32 s6, 0x43800000
	v_cmp_gt_u32_e32 vcc, s6, v4
	v_mov_b32_e32 v8, 0x80
	s_and_saveexec_b64 s[6:7], vcc
	s_cbranch_execz .LBB15_1867
; %bb.1862:
	s_mov_b32 s10, 0x3bffffff
	v_cmp_lt_u32_e32 vcc, s10, v4
	s_mov_b64 s[10:11], 0
                                        ; implicit-def: $vgpr4
	s_and_saveexec_b64 s[12:13], vcc
	s_xor_b64 s[12:13], exec, s[12:13]
	s_cbranch_execz .LBB15_2158
; %bb.1863:
	v_bfe_u32 v4, v3, 20, 1
	s_mov_b32 s16, 0x487ffff
	v_add3_u32 v4, v3, v4, s16
	s_mov_b64 s[10:11], exec
	v_lshrrev_b32_e32 v4, 20, v4
	s_andn2_saveexec_b64 s[12:13], s[12:13]
	s_cbranch_execnz .LBB15_2159
.LBB15_1864:
	s_or_b64 exec, exec, s[12:13]
	v_mov_b32_e32 v8, 0
	s_and_saveexec_b64 s[12:13], s[10:11]
.LBB15_1865:
	v_lshrrev_b32_e32 v8, 24, v3
	s_movk_i32 s10, 0x80
	v_and_or_b32 v8, v8, s10, v4
.LBB15_1866:
	s_or_b64 exec, exec, s[12:13]
.LBB15_1867:
	s_or_b64 exec, exec, s[6:7]
	global_store_byte v[5:6], v8, off
.LBB15_1868:
	s_mov_b64 s[6:7], -1
.LBB15_1869:
	s_mov_b64 s[10:11], 0
.LBB15_1870:
	s_and_b64 vcc, exec, s[10:11]
	s_cbranch_vccz .LBB15_1910
; %bb.1871:
	s_cmp_gt_i32 s15, 22
	s_mov_b64 s[4:5], -1
	s_cbranch_scc0 .LBB15_1903
; %bb.1872:
	s_cmp_lt_i32 s15, 24
	s_cbranch_scc1 .LBB15_1892
; %bb.1873:
	s_cmp_gt_i32 s15, 24
	s_cbranch_scc0 .LBB15_1881
; %bb.1874:
	v_and_b32_e32 v4, 0x7fffffff, v3
	s_mov_b32 s4, 0x47800000
	v_cmp_gt_u32_e32 vcc, s4, v4
	v_mov_b32_e32 v8, 0x80
	s_and_saveexec_b64 s[4:5], vcc
	s_cbranch_execz .LBB15_1880
; %bb.1875:
	s_mov_b32 s6, 0x37ffffff
	v_cmp_lt_u32_e32 vcc, s6, v4
	s_mov_b64 s[6:7], 0
                                        ; implicit-def: $vgpr4
	s_and_saveexec_b64 s[10:11], vcc
	s_xor_b64 s[10:11], exec, s[10:11]
	s_cbranch_execz .LBB15_2161
; %bb.1876:
	v_bfe_u32 v4, v3, 21, 1
	s_mov_b32 s12, 0x88fffff
	v_add3_u32 v4, v3, v4, s12
	s_mov_b64 s[6:7], exec
	v_lshrrev_b32_e32 v4, 21, v4
	s_andn2_saveexec_b64 s[10:11], s[10:11]
	s_cbranch_execnz .LBB15_2162
.LBB15_1877:
	s_or_b64 exec, exec, s[10:11]
	v_mov_b32_e32 v8, 0
	s_and_saveexec_b64 s[10:11], s[6:7]
.LBB15_1878:
	v_lshrrev_b32_e32 v8, 24, v3
	s_movk_i32 s6, 0x80
	v_and_or_b32 v8, v8, s6, v4
.LBB15_1879:
	s_or_b64 exec, exec, s[10:11]
.LBB15_1880:
	s_or_b64 exec, exec, s[4:5]
	s_mov_b64 s[4:5], 0
	global_store_byte v[5:6], v8, off
.LBB15_1881:
	s_and_b64 vcc, exec, s[4:5]
	s_cbranch_vccz .LBB15_1891
; %bb.1882:
	v_and_b32_e32 v8, 0x7fffffff, v3
	s_mov_b32 s4, 0x43f00000
	v_cmp_gt_u32_e32 vcc, s4, v8
                                        ; implicit-def: $vgpr4
	s_and_saveexec_b64 s[4:5], vcc
	s_xor_b64 s[4:5], exec, s[4:5]
	s_cbranch_execz .LBB15_1888
; %bb.1883:
	s_mov_b32 s6, 0x3c7fffff
	v_cmp_lt_u32_e32 vcc, s6, v8
                                        ; implicit-def: $vgpr4
	s_and_saveexec_b64 s[6:7], vcc
	s_xor_b64 s[6:7], exec, s[6:7]
; %bb.1884:
	v_bfe_u32 v4, v3, 20, 1
	s_mov_b32 s10, 0x407ffff
	v_add3_u32 v4, v3, v4, s10
	v_lshrrev_b32_e32 v8, 20, v4
	v_and_b32_e32 v4, 0xff00000, v4
	s_mov_b32 s10, 0x7f00000
	v_mov_b32_e32 v9, 0x7e
	v_cmp_ne_u32_e32 vcc, s10, v4
	v_cndmask_b32_e32 v4, v9, v8, vcc
; %bb.1885:
	s_andn2_saveexec_b64 s[6:7], s[6:7]
; %bb.1886:
	s_mov_b32 s10, 0x46800000
	v_add_f32_e64 v4, |v3|, s10
; %bb.1887:
	s_or_b64 exec, exec, s[6:7]
                                        ; implicit-def: $vgpr8
.LBB15_1888:
	s_andn2_saveexec_b64 s[4:5], s[4:5]
; %bb.1889:
	s_mov_b32 s6, 0x7f800000
	v_mov_b32_e32 v4, 0x7e
	v_mov_b32_e32 v9, 0x7f
	v_cmp_lt_u32_e32 vcc, s6, v8
	v_cndmask_b32_e32 v4, v4, v9, vcc
; %bb.1890:
	s_or_b64 exec, exec, s[4:5]
	v_lshrrev_b32_e32 v8, 24, v3
	s_movk_i32 s4, 0x80
	v_and_or_b32 v4, v8, s4, v4
	global_store_byte v[5:6], v4, off
.LBB15_1891:
	s_mov_b64 s[4:5], 0
.LBB15_1892:
	s_andn2_b64 vcc, exec, s[4:5]
	s_cbranch_vccnz .LBB15_1902
; %bb.1893:
	v_and_b32_e32 v8, 0x7fffffff, v3
	s_mov_b32 s4, 0x47800000
	v_cmp_gt_u32_e32 vcc, s4, v8
                                        ; implicit-def: $vgpr4
	s_and_saveexec_b64 s[4:5], vcc
	s_xor_b64 s[4:5], exec, s[4:5]
	s_cbranch_execz .LBB15_1899
; %bb.1894:
	s_mov_b32 s6, 0x387fffff
	v_cmp_lt_u32_e32 vcc, s6, v8
                                        ; implicit-def: $vgpr4
	s_and_saveexec_b64 s[6:7], vcc
	s_xor_b64 s[6:7], exec, s[6:7]
; %bb.1895:
	v_bfe_u32 v4, v3, 21, 1
	s_mov_b32 s10, 0x80fffff
	v_add3_u32 v4, v3, v4, s10
	v_lshrrev_b32_e32 v4, 21, v4
; %bb.1896:
	s_andn2_saveexec_b64 s[6:7], s[6:7]
; %bb.1897:
	s_mov_b32 s10, 0x43000000
	v_add_f32_e64 v4, |v3|, s10
; %bb.1898:
	s_or_b64 exec, exec, s[6:7]
                                        ; implicit-def: $vgpr8
.LBB15_1899:
	s_andn2_saveexec_b64 s[4:5], s[4:5]
; %bb.1900:
	s_mov_b32 s6, 0x7f800000
	v_mov_b32_e32 v4, 0x7c
	v_mov_b32_e32 v9, 0x7f
	v_cmp_lt_u32_e32 vcc, s6, v8
	v_cndmask_b32_e32 v4, v4, v9, vcc
; %bb.1901:
	s_or_b64 exec, exec, s[4:5]
	v_lshrrev_b32_e32 v8, 24, v3
	s_movk_i32 s4, 0x80
	v_and_or_b32 v4, v8, s4, v4
	global_store_byte v[5:6], v4, off
.LBB15_1902:
	s_mov_b64 s[4:5], 0
	s_mov_b64 s[6:7], -1
.LBB15_1903:
	s_andn2_b64 vcc, exec, s[4:5]
	s_mov_b64 s[4:5], 0
	s_cbranch_vccnz .LBB15_1910
; %bb.1904:
	s_cmp_gt_i32 s15, 14
	s_mov_b64 s[10:11], -1
	s_cbranch_scc0 .LBB15_1908
; %bb.1905:
	s_cmp_eq_u32 s15, 15
	s_mov_b64 s[0:1], -1
	s_cbranch_scc0 .LBB15_1907
; %bb.1906:
	v_bfe_u32 v4, v3, 16, 1
	s_movk_i32 s0, 0x7fff
	v_add3_u32 v4, v3, v4, s0
	v_cmp_o_f32_e32 vcc, v3, v3
	v_mov_b32_e32 v8, 0x7fc0
	v_cndmask_b32_sdwa v4, v8, v4, vcc dst_sel:DWORD dst_unused:UNUSED_PAD src0_sel:DWORD src1_sel:WORD_1
	global_store_short v[5:6], v4, off
	s_mov_b64 s[0:1], 0
	s_mov_b64 s[6:7], -1
.LBB15_1907:
	s_mov_b64 s[10:11], 0
.LBB15_1908:
	s_and_b64 vcc, exec, s[10:11]
	s_cbranch_vccz .LBB15_1910
; %bb.1909:
	s_cmp_lg_u32 s15, 11
	s_mov_b64 s[4:5], -1
	s_cselect_b64 s[0:1], -1, 0
.LBB15_1910:
	s_and_b64 vcc, exec, s[0:1]
	s_cbranch_vccnz .LBB15_2160
; %bb.1911:
	s_andn2_b64 vcc, exec, s[4:5]
	s_cbranch_vccnz .LBB15_1913
.LBB15_1912:
	v_cmp_neq_f32_e32 vcc, 0, v3
	v_cndmask_b32_e64 v4, 0, 1, vcc
	s_mov_b64 s[6:7], -1
	global_store_byte v[5:6], v4, off
.LBB15_1913:
	s_mov_b64 s[0:1], 0
	s_branch .LBB15_1915
.LBB15_1914:
	s_mov_b64 s[0:1], -1
	s_mov_b64 s[6:7], 0
.LBB15_1915:
	s_and_b64 vcc, exec, s[0:1]
	s_cbranch_vccz .LBB15_1954
; %bb.1916:
	s_cmp_lt_i32 s15, 5
	s_mov_b64 s[0:1], -1
	s_cbranch_scc1 .LBB15_1937
; %bb.1917:
	s_cmp_lt_i32 s15, 8
	s_cbranch_scc1 .LBB15_1927
; %bb.1918:
	s_cmp_lt_i32 s15, 9
	s_cbranch_scc1 .LBB15_1924
; %bb.1919:
	s_cmp_gt_i32 s15, 9
	s_cbranch_scc0 .LBB15_1921
; %bb.1920:
	v_cvt_f64_f32_e32 v[8:9], v3
	v_mov_b32_e32 v10, 0
	v_mov_b32_e32 v11, v10
	s_mov_b64 s[0:1], 0
	global_store_dwordx4 v[5:6], v[8:11], off
.LBB15_1921:
	s_andn2_b64 vcc, exec, s[0:1]
	s_cbranch_vccnz .LBB15_1923
; %bb.1922:
	v_mov_b32_e32 v4, 0
	global_store_dwordx2 v[5:6], v[3:4], off
.LBB15_1923:
	s_mov_b64 s[0:1], 0
.LBB15_1924:
	s_andn2_b64 vcc, exec, s[0:1]
	s_cbranch_vccnz .LBB15_1926
; %bb.1925:
	v_cvt_f16_f32_e32 v4, v3
	global_store_dword v[5:6], v4, off
.LBB15_1926:
	s_mov_b64 s[0:1], 0
.LBB15_1927:
	s_andn2_b64 vcc, exec, s[0:1]
	s_cbranch_vccnz .LBB15_1936
; %bb.1928:
	s_cmp_lt_i32 s15, 6
	s_mov_b64 s[0:1], -1
	s_cbranch_scc1 .LBB15_1934
; %bb.1929:
	s_cmp_gt_i32 s15, 6
	s_cbranch_scc0 .LBB15_1931
; %bb.1930:
	v_cvt_f64_f32_e32 v[8:9], v3
	s_mov_b64 s[0:1], 0
	global_store_dwordx2 v[5:6], v[8:9], off
.LBB15_1931:
	s_andn2_b64 vcc, exec, s[0:1]
	s_cbranch_vccnz .LBB15_1933
; %bb.1932:
	global_store_dword v[5:6], v3, off
.LBB15_1933:
	s_mov_b64 s[0:1], 0
.LBB15_1934:
	s_andn2_b64 vcc, exec, s[0:1]
	s_cbranch_vccnz .LBB15_1936
; %bb.1935:
	v_cvt_f16_f32_e32 v4, v3
	global_store_short v[5:6], v4, off
.LBB15_1936:
	s_mov_b64 s[0:1], 0
.LBB15_1937:
	s_andn2_b64 vcc, exec, s[0:1]
	s_cbranch_vccnz .LBB15_1953
; %bb.1938:
	s_cmp_lt_i32 s15, 2
	s_mov_b64 s[0:1], -1
	s_cbranch_scc1 .LBB15_1948
; %bb.1939:
	s_cmp_lt_i32 s15, 3
	s_cbranch_scc1 .LBB15_1945
; %bb.1940:
	s_cmp_gt_i32 s15, 3
	s_cbranch_scc0 .LBB15_1942
; %bb.1941:
	v_trunc_f32_e32 v4, v3
	s_mov_b32 s0, 0x2f800000
	v_mul_f32_e64 v8, |v4|, s0
	v_floor_f32_e32 v8, v8
	s_mov_b32 s0, 0xcf800000
	v_cvt_u32_f32_e32 v9, v8
	v_fma_f32 v8, v8, s0, |v4|
	v_cvt_u32_f32_e32 v8, v8
	v_ashrrev_i32_e32 v4, 31, v4
	v_xor_b32_e32 v9, v9, v4
	s_mov_b64 s[0:1], 0
	v_xor_b32_e32 v8, v8, v4
	v_sub_co_u32_e32 v8, vcc, v8, v4
	v_subb_co_u32_e32 v9, vcc, v9, v4, vcc
	global_store_dwordx2 v[5:6], v[8:9], off
.LBB15_1942:
	s_andn2_b64 vcc, exec, s[0:1]
	s_cbranch_vccnz .LBB15_1944
; %bb.1943:
	v_cvt_i32_f32_e32 v4, v3
	global_store_dword v[5:6], v4, off
.LBB15_1944:
	s_mov_b64 s[0:1], 0
.LBB15_1945:
	s_andn2_b64 vcc, exec, s[0:1]
	s_cbranch_vccnz .LBB15_1947
; %bb.1946:
	v_cvt_i32_f32_e32 v4, v3
	global_store_short v[5:6], v4, off
.LBB15_1947:
	s_mov_b64 s[0:1], 0
.LBB15_1948:
	s_andn2_b64 vcc, exec, s[0:1]
	s_cbranch_vccnz .LBB15_1953
; %bb.1949:
	s_cmp_gt_i32 s15, 0
	s_mov_b64 s[0:1], -1
	s_cbranch_scc0 .LBB15_1951
; %bb.1950:
	v_cvt_i32_f32_e32 v4, v3
	s_mov_b64 s[0:1], 0
	global_store_byte v[5:6], v4, off
.LBB15_1951:
	s_andn2_b64 vcc, exec, s[0:1]
	s_cbranch_vccnz .LBB15_1953
; %bb.1952:
	v_trunc_f32_e32 v3, v3
	s_mov_b32 s0, 0x2f800000
	v_mul_f32_e64 v4, |v3|, s0
	v_floor_f32_e32 v4, v4
	s_mov_b32 s0, 0xcf800000
	v_fma_f32 v4, v4, s0, |v3|
	v_cvt_u32_f32_e32 v4, v4
	v_ashrrev_i32_e32 v3, 31, v3
	v_xor_b32_e32 v4, v4, v3
	v_sub_u32_e32 v3, v4, v3
	global_store_byte v[5:6], v3, off
.LBB15_1953:
	s_mov_b64 s[6:7], -1
.LBB15_1954:
	s_andn2_b64 vcc, exec, s[6:7]
	s_cbranch_vccnz .LBB15_2150
; %bb.1955:
	v_mov_b32_e32 v3, s9
	v_add_co_u32_e32 v2, vcc, s8, v2
	s_cmp_lt_i32 s15, 11
	v_addc_co_u32_e32 v3, vcc, 0, v3, vcc
	s_cbranch_scc1 .LBB15_2033
; %bb.1956:
	s_mov_b64 s[10:11], -1
	s_mov_b64 s[4:5], 0
	s_cmp_gt_i32 s15, 25
	s_mov_b64 s[6:7], 0
	s_mov_b64 s[0:1], 0
	s_cbranch_scc0 .LBB15_1989
; %bb.1957:
	s_cmp_gt_i32 s15, 28
	s_cbranch_scc0 .LBB15_1972
; %bb.1958:
	s_cmp_gt_i32 s15, 43
	;; [unrolled: 3-line block ×3, first 2 shown]
	s_cbranch_scc0 .LBB15_1962
; %bb.1960:
	s_mov_b64 s[0:1], -1
	s_mov_b64 s[10:11], 0
	s_cmp_eq_u32 s15, 46
	s_cbranch_scc0 .LBB15_1962
; %bb.1961:
	v_bfe_u32 v4, v7, 16, 1
	s_movk_i32 s0, 0x7fff
	v_add3_u32 v4, v7, v4, s0
	v_cmp_o_f32_e32 vcc, v7, v7
	v_mov_b32_e32 v5, 0x7fc0
	v_cndmask_b32_sdwa v4, v5, v4, vcc dst_sel:DWORD dst_unused:UNUSED_PAD src0_sel:DWORD src1_sel:WORD_1
	global_store_dword v[2:3], v4, off
	s_mov_b64 s[0:1], 0
	s_mov_b64 s[6:7], -1
.LBB15_1962:
	s_and_b64 vcc, exec, s[10:11]
	s_cbranch_vccz .LBB15_1967
; %bb.1963:
	s_cmp_eq_u32 s15, 44
	s_mov_b64 s[0:1], -1
	s_cbranch_scc0 .LBB15_1967
; %bb.1964:
	v_bfe_u32 v4, v7, 23, 8
	s_movk_i32 s0, 0xff
	v_cmp_ne_u32_e32 vcc, s0, v4
	v_mov_b32_e32 v5, 0xff
	s_and_saveexec_b64 s[6:7], vcc
; %bb.1965:
	s_mov_b32 s0, 0x3fffff
	v_and_b32_e32 v6, 0x400000, v7
	v_and_or_b32 v4, v7, s0, v4
	v_cmp_ne_u32_e32 vcc, 0, v6
	v_cmp_ne_u32_e64 s[0:1], 0, v4
	s_and_b64 s[0:1], vcc, s[0:1]
	v_lshrrev_b32_e32 v5, 23, v7
	v_cndmask_b32_e64 v4, 0, 1, s[0:1]
	v_add_u32_e32 v5, v5, v4
; %bb.1966:
	s_or_b64 exec, exec, s[6:7]
	s_mov_b64 s[0:1], 0
	s_mov_b64 s[6:7], -1
	global_store_byte v[2:3], v5, off
.LBB15_1967:
	s_mov_b64 s[10:11], 0
.LBB15_1968:
	s_and_b64 vcc, exec, s[10:11]
	s_cbranch_vccz .LBB15_1971
; %bb.1969:
	s_cmp_eq_u32 s15, 29
	s_mov_b64 s[0:1], -1
	s_cbranch_scc0 .LBB15_1971
; %bb.1970:
	v_trunc_f32_e32 v4, v7
	v_mul_f32_e32 v5, 0x2f800000, v4
	v_floor_f32_e32 v6, v5
	v_fmac_f32_e32 v4, 0xcf800000, v6
	v_cvt_u32_f32_e32 v5, v6
	v_cvt_u32_f32_e32 v4, v4
	s_mov_b64 s[0:1], 0
	s_mov_b64 s[6:7], -1
	global_store_dwordx2 v[2:3], v[4:5], off
.LBB15_1971:
	s_mov_b64 s[10:11], 0
.LBB15_1972:
	s_and_b64 vcc, exec, s[10:11]
	s_cbranch_vccz .LBB15_1988
; %bb.1973:
	s_cmp_lt_i32 s15, 27
	s_mov_b64 s[6:7], -1
	s_cbranch_scc1 .LBB15_1979
; %bb.1974:
	v_cvt_u32_f32_e32 v4, v7
	s_cmp_gt_i32 s15, 27
	s_cbranch_scc0 .LBB15_1976
; %bb.1975:
	s_mov_b64 s[6:7], 0
	global_store_dword v[2:3], v4, off
.LBB15_1976:
	s_andn2_b64 vcc, exec, s[6:7]
	s_cbranch_vccnz .LBB15_1978
; %bb.1977:
	global_store_short v[2:3], v4, off
.LBB15_1978:
	s_mov_b64 s[6:7], 0
.LBB15_1979:
	s_andn2_b64 vcc, exec, s[6:7]
	s_cbranch_vccnz .LBB15_1987
; %bb.1980:
	v_and_b32_e32 v4, 0x7fffffff, v7
	s_mov_b32 s6, 0x43800000
	v_cmp_gt_u32_e32 vcc, s6, v4
	v_mov_b32_e32 v5, 0x80
	s_and_saveexec_b64 s[6:7], vcc
	s_cbranch_execz .LBB15_1986
; %bb.1981:
	s_mov_b32 s10, 0x3bffffff
	v_cmp_lt_u32_e32 vcc, s10, v4
	s_mov_b64 s[10:11], 0
                                        ; implicit-def: $vgpr4
	s_and_saveexec_b64 s[12:13], vcc
	s_xor_b64 s[12:13], exec, s[12:13]
	s_cbranch_execz .LBB15_2163
; %bb.1982:
	v_bfe_u32 v4, v7, 20, 1
	s_mov_b32 s16, 0x487ffff
	v_add3_u32 v4, v7, v4, s16
	s_mov_b64 s[10:11], exec
	v_lshrrev_b32_e32 v4, 20, v4
	s_andn2_saveexec_b64 s[12:13], s[12:13]
	s_cbranch_execnz .LBB15_2164
.LBB15_1983:
	s_or_b64 exec, exec, s[12:13]
	v_mov_b32_e32 v5, 0
	s_and_saveexec_b64 s[12:13], s[10:11]
.LBB15_1984:
	v_lshrrev_b32_e32 v5, 24, v7
	s_movk_i32 s10, 0x80
	v_and_or_b32 v5, v5, s10, v4
.LBB15_1985:
	s_or_b64 exec, exec, s[12:13]
.LBB15_1986:
	s_or_b64 exec, exec, s[6:7]
	global_store_byte v[2:3], v5, off
.LBB15_1987:
	s_mov_b64 s[6:7], -1
.LBB15_1988:
	s_mov_b64 s[10:11], 0
.LBB15_1989:
	s_and_b64 vcc, exec, s[10:11]
	s_cbranch_vccz .LBB15_2029
; %bb.1990:
	s_cmp_gt_i32 s15, 22
	s_mov_b64 s[4:5], -1
	s_cbranch_scc0 .LBB15_2022
; %bb.1991:
	s_cmp_lt_i32 s15, 24
	s_cbranch_scc1 .LBB15_2011
; %bb.1992:
	s_cmp_gt_i32 s15, 24
	s_cbranch_scc0 .LBB15_2000
; %bb.1993:
	v_and_b32_e32 v4, 0x7fffffff, v7
	s_mov_b32 s4, 0x47800000
	v_cmp_gt_u32_e32 vcc, s4, v4
	v_mov_b32_e32 v5, 0x80
	s_and_saveexec_b64 s[4:5], vcc
	s_cbranch_execz .LBB15_1999
; %bb.1994:
	s_mov_b32 s6, 0x37ffffff
	v_cmp_lt_u32_e32 vcc, s6, v4
	s_mov_b64 s[6:7], 0
                                        ; implicit-def: $vgpr4
	s_and_saveexec_b64 s[10:11], vcc
	s_xor_b64 s[10:11], exec, s[10:11]
	s_cbranch_execz .LBB15_2166
; %bb.1995:
	v_bfe_u32 v4, v7, 21, 1
	s_mov_b32 s12, 0x88fffff
	v_add3_u32 v4, v7, v4, s12
	s_mov_b64 s[6:7], exec
	v_lshrrev_b32_e32 v4, 21, v4
	s_andn2_saveexec_b64 s[10:11], s[10:11]
	s_cbranch_execnz .LBB15_2167
.LBB15_1996:
	s_or_b64 exec, exec, s[10:11]
	v_mov_b32_e32 v5, 0
	s_and_saveexec_b64 s[10:11], s[6:7]
.LBB15_1997:
	v_lshrrev_b32_e32 v5, 24, v7
	s_movk_i32 s6, 0x80
	v_and_or_b32 v5, v5, s6, v4
.LBB15_1998:
	s_or_b64 exec, exec, s[10:11]
.LBB15_1999:
	s_or_b64 exec, exec, s[4:5]
	s_mov_b64 s[4:5], 0
	global_store_byte v[2:3], v5, off
.LBB15_2000:
	s_and_b64 vcc, exec, s[4:5]
	s_cbranch_vccz .LBB15_2010
; %bb.2001:
	v_and_b32_e32 v5, 0x7fffffff, v7
	s_mov_b32 s4, 0x43f00000
	v_cmp_gt_u32_e32 vcc, s4, v5
                                        ; implicit-def: $vgpr4
	s_and_saveexec_b64 s[4:5], vcc
	s_xor_b64 s[4:5], exec, s[4:5]
	s_cbranch_execz .LBB15_2007
; %bb.2002:
	s_mov_b32 s6, 0x3c7fffff
	v_cmp_lt_u32_e32 vcc, s6, v5
                                        ; implicit-def: $vgpr4
	s_and_saveexec_b64 s[6:7], vcc
	s_xor_b64 s[6:7], exec, s[6:7]
; %bb.2003:
	v_bfe_u32 v4, v7, 20, 1
	s_mov_b32 s10, 0x407ffff
	v_add3_u32 v4, v7, v4, s10
	v_lshrrev_b32_e32 v5, 20, v4
	v_and_b32_e32 v4, 0xff00000, v4
	s_mov_b32 s10, 0x7f00000
	v_mov_b32_e32 v6, 0x7e
	v_cmp_ne_u32_e32 vcc, s10, v4
	v_cndmask_b32_e32 v4, v6, v5, vcc
; %bb.2004:
	s_andn2_saveexec_b64 s[6:7], s[6:7]
; %bb.2005:
	s_mov_b32 s10, 0x46800000
	v_add_f32_e64 v4, |v7|, s10
; %bb.2006:
	s_or_b64 exec, exec, s[6:7]
                                        ; implicit-def: $vgpr5
.LBB15_2007:
	s_andn2_saveexec_b64 s[4:5], s[4:5]
; %bb.2008:
	s_mov_b32 s6, 0x7f800000
	v_mov_b32_e32 v4, 0x7e
	v_mov_b32_e32 v6, 0x7f
	v_cmp_lt_u32_e32 vcc, s6, v5
	v_cndmask_b32_e32 v4, v4, v6, vcc
; %bb.2009:
	s_or_b64 exec, exec, s[4:5]
	v_lshrrev_b32_e32 v5, 24, v7
	s_movk_i32 s4, 0x80
	v_and_or_b32 v4, v5, s4, v4
	global_store_byte v[2:3], v4, off
.LBB15_2010:
	s_mov_b64 s[4:5], 0
.LBB15_2011:
	s_andn2_b64 vcc, exec, s[4:5]
	s_cbranch_vccnz .LBB15_2021
; %bb.2012:
	v_and_b32_e32 v5, 0x7fffffff, v7
	s_mov_b32 s4, 0x47800000
	v_cmp_gt_u32_e32 vcc, s4, v5
                                        ; implicit-def: $vgpr4
	s_and_saveexec_b64 s[4:5], vcc
	s_xor_b64 s[4:5], exec, s[4:5]
	s_cbranch_execz .LBB15_2018
; %bb.2013:
	s_mov_b32 s6, 0x387fffff
	v_cmp_lt_u32_e32 vcc, s6, v5
                                        ; implicit-def: $vgpr4
	s_and_saveexec_b64 s[6:7], vcc
	s_xor_b64 s[6:7], exec, s[6:7]
; %bb.2014:
	v_bfe_u32 v4, v7, 21, 1
	s_mov_b32 s10, 0x80fffff
	v_add3_u32 v4, v7, v4, s10
	v_lshrrev_b32_e32 v4, 21, v4
; %bb.2015:
	s_andn2_saveexec_b64 s[6:7], s[6:7]
; %bb.2016:
	s_mov_b32 s10, 0x43000000
	v_add_f32_e64 v4, |v7|, s10
; %bb.2017:
	s_or_b64 exec, exec, s[6:7]
                                        ; implicit-def: $vgpr5
.LBB15_2018:
	s_andn2_saveexec_b64 s[4:5], s[4:5]
; %bb.2019:
	s_mov_b32 s6, 0x7f800000
	v_mov_b32_e32 v4, 0x7c
	v_mov_b32_e32 v6, 0x7f
	v_cmp_lt_u32_e32 vcc, s6, v5
	v_cndmask_b32_e32 v4, v4, v6, vcc
; %bb.2020:
	s_or_b64 exec, exec, s[4:5]
	v_lshrrev_b32_e32 v5, 24, v7
	s_movk_i32 s4, 0x80
	v_and_or_b32 v4, v5, s4, v4
	global_store_byte v[2:3], v4, off
.LBB15_2021:
	s_mov_b64 s[4:5], 0
	s_mov_b64 s[6:7], -1
.LBB15_2022:
	s_andn2_b64 vcc, exec, s[4:5]
	s_mov_b64 s[4:5], 0
	s_cbranch_vccnz .LBB15_2029
; %bb.2023:
	s_cmp_gt_i32 s15, 14
	s_mov_b64 s[10:11], -1
	s_cbranch_scc0 .LBB15_2027
; %bb.2024:
	s_cmp_eq_u32 s15, 15
	s_mov_b64 s[0:1], -1
	s_cbranch_scc0 .LBB15_2026
; %bb.2025:
	v_bfe_u32 v4, v7, 16, 1
	s_movk_i32 s0, 0x7fff
	v_add3_u32 v4, v7, v4, s0
	v_cmp_o_f32_e32 vcc, v7, v7
	v_mov_b32_e32 v5, 0x7fc0
	v_cndmask_b32_sdwa v4, v5, v4, vcc dst_sel:DWORD dst_unused:UNUSED_PAD src0_sel:DWORD src1_sel:WORD_1
	global_store_short v[2:3], v4, off
	s_mov_b64 s[0:1], 0
	s_mov_b64 s[6:7], -1
.LBB15_2026:
	s_mov_b64 s[10:11], 0
.LBB15_2027:
	s_and_b64 vcc, exec, s[10:11]
	s_cbranch_vccz .LBB15_2029
; %bb.2028:
	s_cmp_lg_u32 s15, 11
	s_mov_b64 s[4:5], -1
	s_cselect_b64 s[0:1], -1, 0
.LBB15_2029:
	s_and_b64 vcc, exec, s[0:1]
	s_cbranch_vccnz .LBB15_2165
; %bb.2030:
	s_andn2_b64 vcc, exec, s[4:5]
	s_cbranch_vccnz .LBB15_2032
.LBB15_2031:
	v_cmp_neq_f32_e32 vcc, 0, v7
	v_cndmask_b32_e64 v4, 0, 1, vcc
	s_mov_b64 s[6:7], -1
	global_store_byte v[2:3], v4, off
.LBB15_2032:
	s_mov_b64 s[0:1], 0
	s_branch .LBB15_2034
.LBB15_2033:
	s_mov_b64 s[0:1], -1
	s_mov_b64 s[6:7], 0
.LBB15_2034:
	s_and_b64 vcc, exec, s[0:1]
	s_cbranch_vccz .LBB15_2073
; %bb.2035:
	s_cmp_lt_i32 s15, 5
	s_mov_b64 s[0:1], -1
	s_cbranch_scc1 .LBB15_2056
; %bb.2036:
	s_cmp_lt_i32 s15, 8
	s_cbranch_scc1 .LBB15_2046
; %bb.2037:
	s_cmp_lt_i32 s15, 9
	s_cbranch_scc1 .LBB15_2043
; %bb.2038:
	s_cmp_gt_i32 s15, 9
	s_cbranch_scc0 .LBB15_2040
; %bb.2039:
	v_cvt_f64_f32_e32 v[8:9], v7
	v_mov_b32_e32 v10, 0
	v_mov_b32_e32 v11, v10
	s_mov_b64 s[0:1], 0
	global_store_dwordx4 v[2:3], v[8:11], off
.LBB15_2040:
	s_andn2_b64 vcc, exec, s[0:1]
	s_cbranch_vccnz .LBB15_2042
; %bb.2041:
	v_mov_b32_e32 v8, 0
	global_store_dwordx2 v[2:3], v[7:8], off
.LBB15_2042:
	s_mov_b64 s[0:1], 0
.LBB15_2043:
	s_andn2_b64 vcc, exec, s[0:1]
	s_cbranch_vccnz .LBB15_2045
; %bb.2044:
	v_cvt_f16_f32_e32 v4, v7
	global_store_dword v[2:3], v4, off
.LBB15_2045:
	s_mov_b64 s[0:1], 0
.LBB15_2046:
	s_andn2_b64 vcc, exec, s[0:1]
	s_cbranch_vccnz .LBB15_2055
; %bb.2047:
	s_cmp_lt_i32 s15, 6
	s_mov_b64 s[0:1], -1
	s_cbranch_scc1 .LBB15_2053
; %bb.2048:
	s_cmp_gt_i32 s15, 6
	s_cbranch_scc0 .LBB15_2050
; %bb.2049:
	v_cvt_f64_f32_e32 v[4:5], v7
	s_mov_b64 s[0:1], 0
	global_store_dwordx2 v[2:3], v[4:5], off
.LBB15_2050:
	s_andn2_b64 vcc, exec, s[0:1]
	s_cbranch_vccnz .LBB15_2052
; %bb.2051:
	global_store_dword v[2:3], v7, off
.LBB15_2052:
	s_mov_b64 s[0:1], 0
.LBB15_2053:
	s_andn2_b64 vcc, exec, s[0:1]
	s_cbranch_vccnz .LBB15_2055
; %bb.2054:
	v_cvt_f16_f32_e32 v4, v7
	global_store_short v[2:3], v4, off
.LBB15_2055:
	s_mov_b64 s[0:1], 0
.LBB15_2056:
	s_andn2_b64 vcc, exec, s[0:1]
	s_cbranch_vccnz .LBB15_2072
; %bb.2057:
	s_cmp_lt_i32 s15, 2
	s_mov_b64 s[0:1], -1
	s_cbranch_scc1 .LBB15_2067
; %bb.2058:
	s_cmp_lt_i32 s15, 3
	s_cbranch_scc1 .LBB15_2064
; %bb.2059:
	s_cmp_gt_i32 s15, 3
	s_cbranch_scc0 .LBB15_2061
; %bb.2060:
	v_trunc_f32_e32 v4, v7
	s_mov_b32 s0, 0x2f800000
	v_mul_f32_e64 v5, |v4|, s0
	v_floor_f32_e32 v5, v5
	s_mov_b32 s0, 0xcf800000
	v_cvt_u32_f32_e32 v6, v5
	v_fma_f32 v5, v5, s0, |v4|
	v_cvt_u32_f32_e32 v5, v5
	v_ashrrev_i32_e32 v8, 31, v4
	v_xor_b32_e32 v6, v6, v8
	s_mov_b64 s[0:1], 0
	v_xor_b32_e32 v4, v5, v8
	v_sub_co_u32_e32 v4, vcc, v4, v8
	v_subb_co_u32_e32 v5, vcc, v6, v8, vcc
	global_store_dwordx2 v[2:3], v[4:5], off
.LBB15_2061:
	s_andn2_b64 vcc, exec, s[0:1]
	s_cbranch_vccnz .LBB15_2063
; %bb.2062:
	v_cvt_i32_f32_e32 v4, v7
	global_store_dword v[2:3], v4, off
.LBB15_2063:
	s_mov_b64 s[0:1], 0
.LBB15_2064:
	s_andn2_b64 vcc, exec, s[0:1]
	s_cbranch_vccnz .LBB15_2066
; %bb.2065:
	v_cvt_i32_f32_e32 v4, v7
	global_store_short v[2:3], v4, off
.LBB15_2066:
	s_mov_b64 s[0:1], 0
.LBB15_2067:
	s_andn2_b64 vcc, exec, s[0:1]
	s_cbranch_vccnz .LBB15_2072
; %bb.2068:
	s_cmp_gt_i32 s15, 0
	s_mov_b64 s[0:1], -1
	s_cbranch_scc0 .LBB15_2070
; %bb.2069:
	v_cvt_i32_f32_e32 v4, v7
	s_mov_b64 s[0:1], 0
	global_store_byte v[2:3], v4, off
.LBB15_2070:
	s_andn2_b64 vcc, exec, s[0:1]
	s_cbranch_vccnz .LBB15_2072
; %bb.2071:
	v_trunc_f32_e32 v4, v7
	s_mov_b32 s0, 0x2f800000
	v_mul_f32_e64 v5, |v4|, s0
	v_floor_f32_e32 v5, v5
	s_mov_b32 s0, 0xcf800000
	v_fma_f32 v5, v5, s0, |v4|
	v_cvt_u32_f32_e32 v5, v5
	v_ashrrev_i32_e32 v4, 31, v4
	v_xor_b32_e32 v5, v5, v4
	v_sub_u32_e32 v4, v5, v4
	global_store_byte v[2:3], v4, off
.LBB15_2072:
	s_mov_b64 s[6:7], -1
.LBB15_2073:
	s_andn2_b64 vcc, exec, s[6:7]
	s_cbranch_vccnz .LBB15_2150
; %bb.2074:
	v_mov_b32_e32 v2, s9
	v_add_co_u32_e32 v3, vcc, s8, v0
	s_cmp_lt_i32 s15, 11
	v_addc_co_u32_e32 v4, vcc, 0, v2, vcc
	s_cbranch_scc1 .LBB15_2151
; %bb.2075:
	s_mov_b64 s[6:7], -1
	s_mov_b64 s[4:5], 0
	s_cmp_gt_i32 s15, 25
	s_mov_b64 s[0:1], 0
	s_cbranch_scc0 .LBB15_2108
; %bb.2076:
	s_cmp_gt_i32 s15, 28
	s_cbranch_scc0 .LBB15_2092
; %bb.2077:
	s_cmp_gt_i32 s15, 43
	;; [unrolled: 3-line block ×3, first 2 shown]
	s_cbranch_scc0 .LBB15_2082
; %bb.2079:
	s_cmp_eq_u32 s15, 46
	s_mov_b64 s[0:1], -1
	s_cbranch_scc0 .LBB15_2081
; %bb.2080:
	v_bfe_u32 v0, v1, 16, 1
	s_movk_i32 s0, 0x7fff
	v_add3_u32 v0, v1, v0, s0
	v_cmp_o_f32_e32 vcc, v1, v1
	v_mov_b32_e32 v2, 0x7fc0
	v_cndmask_b32_sdwa v0, v2, v0, vcc dst_sel:DWORD dst_unused:UNUSED_PAD src0_sel:DWORD src1_sel:WORD_1
	global_store_dword v[3:4], v0, off
	s_mov_b64 s[0:1], 0
.LBB15_2081:
	s_mov_b64 s[6:7], 0
.LBB15_2082:
	s_and_b64 vcc, exec, s[6:7]
	s_cbranch_vccz .LBB15_2087
; %bb.2083:
	s_cmp_eq_u32 s15, 44
	s_mov_b64 s[0:1], -1
	s_cbranch_scc0 .LBB15_2087
; %bb.2084:
	v_bfe_u32 v0, v1, 23, 8
	s_movk_i32 s0, 0xff
	v_cmp_ne_u32_e32 vcc, s0, v0
	v_mov_b32_e32 v2, 0xff
	s_and_saveexec_b64 s[6:7], vcc
; %bb.2085:
	s_mov_b32 s0, 0x3fffff
	v_and_b32_e32 v5, 0x400000, v1
	v_and_or_b32 v0, v1, s0, v0
	v_cmp_ne_u32_e32 vcc, 0, v5
	v_cmp_ne_u32_e64 s[0:1], 0, v0
	s_and_b64 s[0:1], vcc, s[0:1]
	v_lshrrev_b32_e32 v2, 23, v1
	v_cndmask_b32_e64 v0, 0, 1, s[0:1]
	v_add_u32_e32 v2, v2, v0
; %bb.2086:
	s_or_b64 exec, exec, s[6:7]
	s_mov_b64 s[0:1], 0
	global_store_byte v[3:4], v2, off
.LBB15_2087:
	s_mov_b64 s[6:7], 0
.LBB15_2088:
	s_and_b64 vcc, exec, s[6:7]
	s_cbranch_vccz .LBB15_2091
; %bb.2089:
	s_cmp_eq_u32 s15, 29
	s_mov_b64 s[0:1], -1
	s_cbranch_scc0 .LBB15_2091
; %bb.2090:
	v_trunc_f32_e32 v0, v1
	v_mul_f32_e32 v2, 0x2f800000, v0
	v_floor_f32_e32 v2, v2
	v_fmac_f32_e32 v0, 0xcf800000, v2
	v_cvt_u32_f32_e32 v6, v2
	v_cvt_u32_f32_e32 v5, v0
	s_mov_b64 s[0:1], 0
	global_store_dwordx2 v[3:4], v[5:6], off
.LBB15_2091:
	s_mov_b64 s[6:7], 0
.LBB15_2092:
	s_and_b64 vcc, exec, s[6:7]
	s_cbranch_vccz .LBB15_2107
; %bb.2093:
	s_cmp_lt_i32 s15, 27
	s_mov_b64 s[6:7], -1
	s_cbranch_scc1 .LBB15_2099
; %bb.2094:
	s_cmp_gt_i32 s15, 27
	s_cbranch_scc0 .LBB15_2096
; %bb.2095:
	v_cvt_u32_f32_e32 v0, v1
	s_mov_b64 s[6:7], 0
	global_store_dword v[3:4], v0, off
.LBB15_2096:
	s_andn2_b64 vcc, exec, s[6:7]
	s_cbranch_vccnz .LBB15_2098
; %bb.2097:
	v_cvt_u32_f32_e32 v0, v1
	global_store_short v[3:4], v0, off
.LBB15_2098:
	s_mov_b64 s[6:7], 0
.LBB15_2099:
	s_andn2_b64 vcc, exec, s[6:7]
	s_cbranch_vccnz .LBB15_2107
; %bb.2100:
	v_and_b32_e32 v0, 0x7fffffff, v1
	s_mov_b32 s6, 0x43800000
	v_cmp_gt_u32_e32 vcc, s6, v0
	v_mov_b32_e32 v2, 0x80
	s_and_saveexec_b64 s[6:7], vcc
	s_cbranch_execz .LBB15_2106
; %bb.2101:
	s_mov_b32 s8, 0x3bffffff
	v_cmp_lt_u32_e32 vcc, s8, v0
	s_mov_b64 s[8:9], 0
                                        ; implicit-def: $vgpr0
	s_and_saveexec_b64 s[10:11], vcc
	s_xor_b64 s[10:11], exec, s[10:11]
	s_cbranch_execz .LBB15_2168
; %bb.2102:
	v_bfe_u32 v0, v1, 20, 1
	s_mov_b32 s12, 0x487ffff
	v_add3_u32 v0, v1, v0, s12
	s_mov_b64 s[8:9], exec
	v_lshrrev_b32_e32 v0, 20, v0
	s_andn2_saveexec_b64 s[10:11], s[10:11]
	s_cbranch_execnz .LBB15_2169
.LBB15_2103:
	s_or_b64 exec, exec, s[10:11]
	v_mov_b32_e32 v2, 0
	s_and_saveexec_b64 s[10:11], s[8:9]
.LBB15_2104:
	v_lshrrev_b32_e32 v2, 24, v1
	s_movk_i32 s8, 0x80
	v_and_or_b32 v2, v2, s8, v0
.LBB15_2105:
	s_or_b64 exec, exec, s[10:11]
.LBB15_2106:
	s_or_b64 exec, exec, s[6:7]
	global_store_byte v[3:4], v2, off
.LBB15_2107:
	s_mov_b64 s[6:7], 0
.LBB15_2108:
	s_and_b64 vcc, exec, s[6:7]
	s_cbranch_vccz .LBB15_2148
; %bb.2109:
	s_cmp_gt_i32 s15, 22
	s_mov_b64 s[4:5], -1
	s_cbranch_scc0 .LBB15_2141
; %bb.2110:
	s_cmp_lt_i32 s15, 24
	s_cbranch_scc1 .LBB15_2130
; %bb.2111:
	s_cmp_gt_i32 s15, 24
	s_cbranch_scc0 .LBB15_2119
; %bb.2112:
	v_and_b32_e32 v0, 0x7fffffff, v1
	s_mov_b32 s4, 0x47800000
	v_cmp_gt_u32_e32 vcc, s4, v0
	v_mov_b32_e32 v2, 0x80
	s_and_saveexec_b64 s[4:5], vcc
	s_cbranch_execz .LBB15_2118
; %bb.2113:
	s_mov_b32 s6, 0x37ffffff
	v_cmp_lt_u32_e32 vcc, s6, v0
	s_mov_b64 s[6:7], 0
                                        ; implicit-def: $vgpr0
	s_and_saveexec_b64 s[8:9], vcc
	s_xor_b64 s[8:9], exec, s[8:9]
	s_cbranch_execz .LBB15_2171
; %bb.2114:
	v_bfe_u32 v0, v1, 21, 1
	s_mov_b32 s10, 0x88fffff
	v_add3_u32 v0, v1, v0, s10
	s_mov_b64 s[6:7], exec
	v_lshrrev_b32_e32 v0, 21, v0
	s_andn2_saveexec_b64 s[8:9], s[8:9]
	s_cbranch_execnz .LBB15_2172
.LBB15_2115:
	s_or_b64 exec, exec, s[8:9]
	v_mov_b32_e32 v2, 0
	s_and_saveexec_b64 s[8:9], s[6:7]
.LBB15_2116:
	v_lshrrev_b32_e32 v2, 24, v1
	s_movk_i32 s6, 0x80
	v_and_or_b32 v2, v2, s6, v0
.LBB15_2117:
	s_or_b64 exec, exec, s[8:9]
.LBB15_2118:
	s_or_b64 exec, exec, s[4:5]
	s_mov_b64 s[4:5], 0
	global_store_byte v[3:4], v2, off
.LBB15_2119:
	s_and_b64 vcc, exec, s[4:5]
	s_cbranch_vccz .LBB15_2129
; %bb.2120:
	v_and_b32_e32 v2, 0x7fffffff, v1
	s_mov_b32 s4, 0x43f00000
	v_cmp_gt_u32_e32 vcc, s4, v2
                                        ; implicit-def: $vgpr0
	s_and_saveexec_b64 s[4:5], vcc
	s_xor_b64 s[4:5], exec, s[4:5]
	s_cbranch_execz .LBB15_2126
; %bb.2121:
	s_mov_b32 s6, 0x3c7fffff
	v_cmp_lt_u32_e32 vcc, s6, v2
                                        ; implicit-def: $vgpr0
	s_and_saveexec_b64 s[6:7], vcc
	s_xor_b64 s[6:7], exec, s[6:7]
; %bb.2122:
	v_bfe_u32 v0, v1, 20, 1
	s_mov_b32 s8, 0x407ffff
	v_add3_u32 v0, v1, v0, s8
	v_lshrrev_b32_e32 v2, 20, v0
	v_and_b32_e32 v0, 0xff00000, v0
	s_mov_b32 s8, 0x7f00000
	v_mov_b32_e32 v5, 0x7e
	v_cmp_ne_u32_e32 vcc, s8, v0
	v_cndmask_b32_e32 v0, v5, v2, vcc
; %bb.2123:
	s_andn2_saveexec_b64 s[6:7], s[6:7]
; %bb.2124:
	s_mov_b32 s8, 0x46800000
	v_add_f32_e64 v0, |v1|, s8
; %bb.2125:
	s_or_b64 exec, exec, s[6:7]
                                        ; implicit-def: $vgpr2
.LBB15_2126:
	s_andn2_saveexec_b64 s[4:5], s[4:5]
; %bb.2127:
	s_mov_b32 s6, 0x7f800000
	v_mov_b32_e32 v0, 0x7e
	v_mov_b32_e32 v5, 0x7f
	v_cmp_lt_u32_e32 vcc, s6, v2
	v_cndmask_b32_e32 v0, v0, v5, vcc
; %bb.2128:
	s_or_b64 exec, exec, s[4:5]
	v_lshrrev_b32_e32 v2, 24, v1
	s_movk_i32 s4, 0x80
	v_and_or_b32 v0, v2, s4, v0
	global_store_byte v[3:4], v0, off
.LBB15_2129:
	s_mov_b64 s[4:5], 0
.LBB15_2130:
	s_andn2_b64 vcc, exec, s[4:5]
	s_cbranch_vccnz .LBB15_2140
; %bb.2131:
	v_and_b32_e32 v2, 0x7fffffff, v1
	s_mov_b32 s4, 0x47800000
	v_cmp_gt_u32_e32 vcc, s4, v2
                                        ; implicit-def: $vgpr0
	s_and_saveexec_b64 s[4:5], vcc
	s_xor_b64 s[4:5], exec, s[4:5]
	s_cbranch_execz .LBB15_2137
; %bb.2132:
	s_mov_b32 s6, 0x387fffff
	v_cmp_lt_u32_e32 vcc, s6, v2
                                        ; implicit-def: $vgpr0
	s_and_saveexec_b64 s[6:7], vcc
	s_xor_b64 s[6:7], exec, s[6:7]
; %bb.2133:
	v_bfe_u32 v0, v1, 21, 1
	s_mov_b32 s8, 0x80fffff
	v_add3_u32 v0, v1, v0, s8
	v_lshrrev_b32_e32 v0, 21, v0
; %bb.2134:
	s_andn2_saveexec_b64 s[6:7], s[6:7]
; %bb.2135:
	s_mov_b32 s8, 0x43000000
	v_add_f32_e64 v0, |v1|, s8
; %bb.2136:
	s_or_b64 exec, exec, s[6:7]
                                        ; implicit-def: $vgpr2
.LBB15_2137:
	s_andn2_saveexec_b64 s[4:5], s[4:5]
; %bb.2138:
	s_mov_b32 s6, 0x7f800000
	v_mov_b32_e32 v0, 0x7c
	v_mov_b32_e32 v5, 0x7f
	v_cmp_lt_u32_e32 vcc, s6, v2
	v_cndmask_b32_e32 v0, v0, v5, vcc
; %bb.2139:
	s_or_b64 exec, exec, s[4:5]
	v_lshrrev_b32_e32 v2, 24, v1
	s_movk_i32 s4, 0x80
	v_and_or_b32 v0, v2, s4, v0
	global_store_byte v[3:4], v0, off
.LBB15_2140:
	s_mov_b64 s[4:5], 0
.LBB15_2141:
	s_andn2_b64 vcc, exec, s[4:5]
	s_mov_b64 s[4:5], 0
	s_cbranch_vccnz .LBB15_2148
; %bb.2142:
	s_cmp_gt_i32 s15, 14
	s_mov_b64 s[6:7], -1
	s_cbranch_scc0 .LBB15_2146
; %bb.2143:
	s_cmp_eq_u32 s15, 15
	s_mov_b64 s[0:1], -1
	s_cbranch_scc0 .LBB15_2145
; %bb.2144:
	v_bfe_u32 v0, v1, 16, 1
	s_movk_i32 s0, 0x7fff
	v_add3_u32 v0, v1, v0, s0
	v_cmp_o_f32_e32 vcc, v1, v1
	v_mov_b32_e32 v2, 0x7fc0
	v_cndmask_b32_sdwa v0, v2, v0, vcc dst_sel:DWORD dst_unused:UNUSED_PAD src0_sel:DWORD src1_sel:WORD_1
	global_store_short v[3:4], v0, off
	s_mov_b64 s[0:1], 0
.LBB15_2145:
	s_mov_b64 s[6:7], 0
.LBB15_2146:
	s_and_b64 vcc, exec, s[6:7]
	s_cbranch_vccz .LBB15_2148
; %bb.2147:
	s_cmp_lg_u32 s15, 11
	s_mov_b64 s[4:5], -1
	s_cselect_b64 s[0:1], -1, 0
.LBB15_2148:
	s_and_b64 vcc, exec, s[0:1]
	s_cbranch_vccnz .LBB15_2170
.LBB15_2149:
	s_mov_b64 s[0:1], 0
	s_branch .LBB15_1751
.LBB15_2150:
	s_mov_b64 s[0:1], 0
                                        ; implicit-def: $vgpr3_vgpr4
                                        ; implicit-def: $sgpr14
	s_branch .LBB15_1750
.LBB15_2151:
	s_mov_b64 s[4:5], 0
	s_mov_b64 s[0:1], -1
	s_branch .LBB15_1751
.LBB15_2152:
	s_trap 2
	s_or_b64 s[2:3], s[2:3], exec
	s_cbranch_execz .LBB15_1617
	s_branch .LBB15_1618
.LBB15_2153:
	s_andn2_saveexec_b64 s[12:13], s[12:13]
	s_cbranch_execz .LBB15_1699
.LBB15_2154:
	s_mov_b32 s16, 0x46000000
	v_add_f32_e64 v6, |v5|, s16
	v_and_b32_e32 v6, 0xff, v6
	v_cmp_ne_u32_e32 vcc, 0, v6
	s_andn2_b64 s[10:11], s[10:11], exec
	s_and_b64 s[16:17], vcc, exec
	s_or_b64 s[10:11], s[10:11], s[16:17]
	s_or_b64 exec, exec, s[12:13]
	v_mov_b32_e32 v10, 0
	s_and_saveexec_b64 s[12:13], s[10:11]
	s_cbranch_execnz .LBB15_1700
	s_branch .LBB15_1701
.LBB15_2155:
	s_trap 2
	s_or_b64 s[2:3], s[2:3], exec
	s_cbranch_execz .LBB15_1747
	s_branch .LBB15_1748
.LBB15_2156:
	s_andn2_saveexec_b64 s[10:11], s[10:11]
	s_cbranch_execz .LBB15_1712
.LBB15_2157:
	s_mov_b32 s12, 0x42800000
	v_add_f32_e64 v6, |v5|, s12
	v_and_b32_e32 v6, 0xff, v6
	v_cmp_ne_u32_e32 vcc, 0, v6
	s_andn2_b64 s[6:7], s[6:7], exec
	s_and_b64 s[12:13], vcc, exec
	s_or_b64 s[6:7], s[6:7], s[12:13]
	s_or_b64 exec, exec, s[10:11]
	v_mov_b32_e32 v10, 0
	s_and_saveexec_b64 s[10:11], s[6:7]
	s_cbranch_execnz .LBB15_1713
	s_branch .LBB15_1714
.LBB15_2158:
	s_andn2_saveexec_b64 s[12:13], s[12:13]
	s_cbranch_execz .LBB15_1864
.LBB15_2159:
	s_mov_b32 s16, 0x46000000
	v_add_f32_e64 v4, |v3|, s16
	v_and_b32_e32 v4, 0xff, v4
	v_cmp_ne_u32_e32 vcc, 0, v4
	s_andn2_b64 s[10:11], s[10:11], exec
	s_and_b64 s[16:17], vcc, exec
	s_or_b64 s[10:11], s[10:11], s[16:17]
	s_or_b64 exec, exec, s[12:13]
	v_mov_b32_e32 v8, 0
	s_and_saveexec_b64 s[12:13], s[10:11]
	s_cbranch_execnz .LBB15_1865
	s_branch .LBB15_1866
.LBB15_2160:
	s_trap 2
	s_or_b64 s[2:3], s[2:3], exec
	s_cbranch_execz .LBB15_1912
	s_branch .LBB15_1913
.LBB15_2161:
	s_andn2_saveexec_b64 s[10:11], s[10:11]
	s_cbranch_execz .LBB15_1877
.LBB15_2162:
	s_mov_b32 s12, 0x42800000
	v_add_f32_e64 v4, |v3|, s12
	v_and_b32_e32 v4, 0xff, v4
	v_cmp_ne_u32_e32 vcc, 0, v4
	s_andn2_b64 s[6:7], s[6:7], exec
	s_and_b64 s[12:13], vcc, exec
	s_or_b64 s[6:7], s[6:7], s[12:13]
	s_or_b64 exec, exec, s[10:11]
	v_mov_b32_e32 v8, 0
	s_and_saveexec_b64 s[10:11], s[6:7]
	s_cbranch_execnz .LBB15_1878
	s_branch .LBB15_1879
.LBB15_2163:
	s_andn2_saveexec_b64 s[12:13], s[12:13]
	s_cbranch_execz .LBB15_1983
.LBB15_2164:
	s_mov_b32 s16, 0x46000000
	v_add_f32_e64 v4, |v7|, s16
	v_and_b32_e32 v4, 0xff, v4
	v_cmp_ne_u32_e32 vcc, 0, v4
	s_andn2_b64 s[10:11], s[10:11], exec
	s_and_b64 s[16:17], vcc, exec
	s_or_b64 s[10:11], s[10:11], s[16:17]
	s_or_b64 exec, exec, s[12:13]
	v_mov_b32_e32 v5, 0
	s_and_saveexec_b64 s[12:13], s[10:11]
	s_cbranch_execnz .LBB15_1984
	s_branch .LBB15_1985
.LBB15_2165:
	s_trap 2
	s_or_b64 s[2:3], s[2:3], exec
	s_cbranch_execz .LBB15_2031
	s_branch .LBB15_2032
.LBB15_2166:
	s_andn2_saveexec_b64 s[10:11], s[10:11]
	s_cbranch_execz .LBB15_1996
.LBB15_2167:
	s_mov_b32 s12, 0x42800000
	v_add_f32_e64 v4, |v7|, s12
	v_and_b32_e32 v4, 0xff, v4
	v_cmp_ne_u32_e32 vcc, 0, v4
	s_andn2_b64 s[6:7], s[6:7], exec
	s_and_b64 s[12:13], vcc, exec
	s_or_b64 s[6:7], s[6:7], s[12:13]
	s_or_b64 exec, exec, s[10:11]
	v_mov_b32_e32 v5, 0
	s_and_saveexec_b64 s[10:11], s[6:7]
	s_cbranch_execnz .LBB15_1997
	s_branch .LBB15_1998
.LBB15_2168:
	s_andn2_saveexec_b64 s[10:11], s[10:11]
	s_cbranch_execz .LBB15_2103
.LBB15_2169:
	s_mov_b32 s12, 0x46000000
	v_add_f32_e64 v0, |v1|, s12
	v_and_b32_e32 v0, 0xff, v0
	v_cmp_ne_u32_e32 vcc, 0, v0
	s_andn2_b64 s[8:9], s[8:9], exec
	s_and_b64 s[12:13], vcc, exec
	s_or_b64 s[8:9], s[8:9], s[12:13]
	s_or_b64 exec, exec, s[10:11]
	v_mov_b32_e32 v2, 0
	s_and_saveexec_b64 s[10:11], s[8:9]
	s_cbranch_execnz .LBB15_2104
	s_branch .LBB15_2105
.LBB15_2170:
	s_mov_b64 s[4:5], 0
	s_or_b64 s[2:3], s[2:3], exec
	s_trap 2
	s_branch .LBB15_2149
.LBB15_2171:
	s_andn2_saveexec_b64 s[8:9], s[8:9]
	s_cbranch_execz .LBB15_2115
.LBB15_2172:
	s_mov_b32 s10, 0x42800000
	v_add_f32_e64 v0, |v1|, s10
	v_and_b32_e32 v0, 0xff, v0
	v_cmp_ne_u32_e32 vcc, 0, v0
	s_andn2_b64 s[6:7], s[6:7], exec
	s_and_b64 s[10:11], vcc, exec
	s_or_b64 s[6:7], s[6:7], s[10:11]
	s_or_b64 exec, exec, s[8:9]
	v_mov_b32_e32 v2, 0
	s_and_saveexec_b64 s[8:9], s[6:7]
	s_cbranch_execnz .LBB15_2116
	s_branch .LBB15_2117
	.section	.rodata,"a",@progbits
	.p2align	6, 0x0
	.amdhsa_kernel _ZN2at6native32elementwise_kernel_manual_unrollILi128ELi4EZNS0_15gpu_kernel_implIZZZNS0_12_GLOBAL__N_124renorm_scale_factor_implERNS_18TensorIteratorBaseEdENKUlvE_clEvENKUlvE0_clEvEUlfE_EEvS5_RKT_EUlibE0_EEviT1_
		.amdhsa_group_segment_fixed_size 0
		.amdhsa_private_segment_fixed_size 0
		.amdhsa_kernarg_size 360
		.amdhsa_user_sgpr_count 6
		.amdhsa_user_sgpr_private_segment_buffer 1
		.amdhsa_user_sgpr_dispatch_ptr 0
		.amdhsa_user_sgpr_queue_ptr 0
		.amdhsa_user_sgpr_kernarg_segment_ptr 1
		.amdhsa_user_sgpr_dispatch_id 0
		.amdhsa_user_sgpr_flat_scratch_init 0
		.amdhsa_user_sgpr_private_segment_size 0
		.amdhsa_uses_dynamic_stack 0
		.amdhsa_system_sgpr_private_segment_wavefront_offset 0
		.amdhsa_system_sgpr_workgroup_id_x 1
		.amdhsa_system_sgpr_workgroup_id_y 0
		.amdhsa_system_sgpr_workgroup_id_z 0
		.amdhsa_system_sgpr_workgroup_info 0
		.amdhsa_system_vgpr_workitem_id 0
		.amdhsa_next_free_vgpr 18
		.amdhsa_next_free_sgpr 79
		.amdhsa_reserve_vcc 1
		.amdhsa_reserve_flat_scratch 0
		.amdhsa_float_round_mode_32 0
		.amdhsa_float_round_mode_16_64 0
		.amdhsa_float_denorm_mode_32 3
		.amdhsa_float_denorm_mode_16_64 3
		.amdhsa_dx10_clamp 1
		.amdhsa_ieee_mode 1
		.amdhsa_fp16_overflow 0
		.amdhsa_exception_fp_ieee_invalid_op 0
		.amdhsa_exception_fp_denorm_src 0
		.amdhsa_exception_fp_ieee_div_zero 0
		.amdhsa_exception_fp_ieee_overflow 0
		.amdhsa_exception_fp_ieee_underflow 0
		.amdhsa_exception_fp_ieee_inexact 0
		.amdhsa_exception_int_div_zero 0
	.end_amdhsa_kernel
	.section	.text._ZN2at6native32elementwise_kernel_manual_unrollILi128ELi4EZNS0_15gpu_kernel_implIZZZNS0_12_GLOBAL__N_124renorm_scale_factor_implERNS_18TensorIteratorBaseEdENKUlvE_clEvENKUlvE0_clEvEUlfE_EEvS5_RKT_EUlibE0_EEviT1_,"axG",@progbits,_ZN2at6native32elementwise_kernel_manual_unrollILi128ELi4EZNS0_15gpu_kernel_implIZZZNS0_12_GLOBAL__N_124renorm_scale_factor_implERNS_18TensorIteratorBaseEdENKUlvE_clEvENKUlvE0_clEvEUlfE_EEvS5_RKT_EUlibE0_EEviT1_,comdat
.Lfunc_end15:
	.size	_ZN2at6native32elementwise_kernel_manual_unrollILi128ELi4EZNS0_15gpu_kernel_implIZZZNS0_12_GLOBAL__N_124renorm_scale_factor_implERNS_18TensorIteratorBaseEdENKUlvE_clEvENKUlvE0_clEvEUlfE_EEvS5_RKT_EUlibE0_EEviT1_, .Lfunc_end15-_ZN2at6native32elementwise_kernel_manual_unrollILi128ELi4EZNS0_15gpu_kernel_implIZZZNS0_12_GLOBAL__N_124renorm_scale_factor_implERNS_18TensorIteratorBaseEdENKUlvE_clEvENKUlvE0_clEvEUlfE_EEvS5_RKT_EUlibE0_EEviT1_
                                        ; -- End function
	.set _ZN2at6native32elementwise_kernel_manual_unrollILi128ELi4EZNS0_15gpu_kernel_implIZZZNS0_12_GLOBAL__N_124renorm_scale_factor_implERNS_18TensorIteratorBaseEdENKUlvE_clEvENKUlvE0_clEvEUlfE_EEvS5_RKT_EUlibE0_EEviT1_.num_vgpr, 18
	.set _ZN2at6native32elementwise_kernel_manual_unrollILi128ELi4EZNS0_15gpu_kernel_implIZZZNS0_12_GLOBAL__N_124renorm_scale_factor_implERNS_18TensorIteratorBaseEdENKUlvE_clEvENKUlvE0_clEvEUlfE_EEvS5_RKT_EUlibE0_EEviT1_.num_agpr, 0
	.set _ZN2at6native32elementwise_kernel_manual_unrollILi128ELi4EZNS0_15gpu_kernel_implIZZZNS0_12_GLOBAL__N_124renorm_scale_factor_implERNS_18TensorIteratorBaseEdENKUlvE_clEvENKUlvE0_clEvEUlfE_EEvS5_RKT_EUlibE0_EEviT1_.numbered_sgpr, 79
	.set _ZN2at6native32elementwise_kernel_manual_unrollILi128ELi4EZNS0_15gpu_kernel_implIZZZNS0_12_GLOBAL__N_124renorm_scale_factor_implERNS_18TensorIteratorBaseEdENKUlvE_clEvENKUlvE0_clEvEUlfE_EEvS5_RKT_EUlibE0_EEviT1_.num_named_barrier, 0
	.set _ZN2at6native32elementwise_kernel_manual_unrollILi128ELi4EZNS0_15gpu_kernel_implIZZZNS0_12_GLOBAL__N_124renorm_scale_factor_implERNS_18TensorIteratorBaseEdENKUlvE_clEvENKUlvE0_clEvEUlfE_EEvS5_RKT_EUlibE0_EEviT1_.private_seg_size, 0
	.set _ZN2at6native32elementwise_kernel_manual_unrollILi128ELi4EZNS0_15gpu_kernel_implIZZZNS0_12_GLOBAL__N_124renorm_scale_factor_implERNS_18TensorIteratorBaseEdENKUlvE_clEvENKUlvE0_clEvEUlfE_EEvS5_RKT_EUlibE0_EEviT1_.uses_vcc, 1
	.set _ZN2at6native32elementwise_kernel_manual_unrollILi128ELi4EZNS0_15gpu_kernel_implIZZZNS0_12_GLOBAL__N_124renorm_scale_factor_implERNS_18TensorIteratorBaseEdENKUlvE_clEvENKUlvE0_clEvEUlfE_EEvS5_RKT_EUlibE0_EEviT1_.uses_flat_scratch, 0
	.set _ZN2at6native32elementwise_kernel_manual_unrollILi128ELi4EZNS0_15gpu_kernel_implIZZZNS0_12_GLOBAL__N_124renorm_scale_factor_implERNS_18TensorIteratorBaseEdENKUlvE_clEvENKUlvE0_clEvEUlfE_EEvS5_RKT_EUlibE0_EEviT1_.has_dyn_sized_stack, 0
	.set _ZN2at6native32elementwise_kernel_manual_unrollILi128ELi4EZNS0_15gpu_kernel_implIZZZNS0_12_GLOBAL__N_124renorm_scale_factor_implERNS_18TensorIteratorBaseEdENKUlvE_clEvENKUlvE0_clEvEUlfE_EEvS5_RKT_EUlibE0_EEviT1_.has_recursion, 0
	.set _ZN2at6native32elementwise_kernel_manual_unrollILi128ELi4EZNS0_15gpu_kernel_implIZZZNS0_12_GLOBAL__N_124renorm_scale_factor_implERNS_18TensorIteratorBaseEdENKUlvE_clEvENKUlvE0_clEvEUlfE_EEvS5_RKT_EUlibE0_EEviT1_.has_indirect_call, 0
	.section	.AMDGPU.csdata,"",@progbits
; Kernel info:
; codeLenInByte = 38300
; TotalNumSgprs: 83
; NumVgprs: 18
; ScratchSize: 0
; MemoryBound: 1
; FloatMode: 240
; IeeeMode: 1
; LDSByteSize: 0 bytes/workgroup (compile time only)
; SGPRBlocks: 10
; VGPRBlocks: 4
; NumSGPRsForWavesPerEU: 83
; NumVGPRsForWavesPerEU: 18
; Occupancy: 9
; WaveLimiterHint : 1
; COMPUTE_PGM_RSRC2:SCRATCH_EN: 0
; COMPUTE_PGM_RSRC2:USER_SGPR: 6
; COMPUTE_PGM_RSRC2:TRAP_HANDLER: 0
; COMPUTE_PGM_RSRC2:TGID_X_EN: 1
; COMPUTE_PGM_RSRC2:TGID_Y_EN: 0
; COMPUTE_PGM_RSRC2:TGID_Z_EN: 0
; COMPUTE_PGM_RSRC2:TIDIG_COMP_CNT: 0
	.section	.AMDGPU.gpr_maximums,"",@progbits
	.set amdgpu.max_num_vgpr, 0
	.set amdgpu.max_num_agpr, 0
	.set amdgpu.max_num_sgpr, 0
	.section	.AMDGPU.csdata,"",@progbits
	.type	__hip_cuid_4bc2b0da195bed25,@object ; @__hip_cuid_4bc2b0da195bed25
	.section	.bss,"aw",@nobits
	.globl	__hip_cuid_4bc2b0da195bed25
__hip_cuid_4bc2b0da195bed25:
	.byte	0                               ; 0x0
	.size	__hip_cuid_4bc2b0da195bed25, 1

	.ident	"AMD clang version 22.0.0git (https://github.com/RadeonOpenCompute/llvm-project roc-7.2.4 26084 f58b06dce1f9c15707c5f808fd002e18c2accf7e)"
	.section	".note.GNU-stack","",@progbits
	.addrsig
	.addrsig_sym __hip_cuid_4bc2b0da195bed25
	.amdgpu_metadata
---
amdhsa.kernels:
  - .args:
      - .offset:         0
        .size:           4
        .value_kind:     by_value
      - .offset:         8
        .size:           8
        .value_kind:     by_value
      - .offset:         16
        .size:           16
        .value_kind:     by_value
    .group_segment_fixed_size: 0
    .kernarg_segment_align: 8
    .kernarg_segment_size: 32
    .language:       OpenCL C
    .language_version:
      - 2
      - 0
    .max_flat_workgroup_size: 256
    .name:           _ZN2at6native29vectorized_elementwise_kernelILi16EZZZNS0_12_GLOBAL__N_124renorm_scale_factor_implERNS_18TensorIteratorBaseEdENKUlvE_clEvENKUlvE_clEvEUldE_St5arrayIPcLm2EEEEviT0_T1_
    .private_segment_fixed_size: 0
    .sgpr_count:     19
    .sgpr_spill_count: 0
    .symbol:         _ZN2at6native29vectorized_elementwise_kernelILi16EZZZNS0_12_GLOBAL__N_124renorm_scale_factor_implERNS_18TensorIteratorBaseEdENKUlvE_clEvENKUlvE_clEvEUldE_St5arrayIPcLm2EEEEviT0_T1_.kd
    .uniform_work_group_size: 1
    .uses_dynamic_stack: false
    .vgpr_count:     24
    .vgpr_spill_count: 0
    .wavefront_size: 64
  - .args:
      - .offset:         0
        .size:           4
        .value_kind:     by_value
      - .offset:         8
        .size:           8
        .value_kind:     by_value
      - .offset:         16
        .size:           16
        .value_kind:     by_value
    .group_segment_fixed_size: 0
    .kernarg_segment_align: 8
    .kernarg_segment_size: 32
    .language:       OpenCL C
    .language_version:
      - 2
      - 0
    .max_flat_workgroup_size: 256
    .name:           _ZN2at6native29vectorized_elementwise_kernelILi8EZZZNS0_12_GLOBAL__N_124renorm_scale_factor_implERNS_18TensorIteratorBaseEdENKUlvE_clEvENKUlvE_clEvEUldE_St5arrayIPcLm2EEEEviT0_T1_
    .private_segment_fixed_size: 0
    .sgpr_count:     19
    .sgpr_spill_count: 0
    .symbol:         _ZN2at6native29vectorized_elementwise_kernelILi8EZZZNS0_12_GLOBAL__N_124renorm_scale_factor_implERNS_18TensorIteratorBaseEdENKUlvE_clEvENKUlvE_clEvEUldE_St5arrayIPcLm2EEEEviT0_T1_.kd
    .uniform_work_group_size: 1
    .uses_dynamic_stack: false
    .vgpr_count:     24
    .vgpr_spill_count: 0
    .wavefront_size: 64
  - .args:
      - .offset:         0
        .size:           4
        .value_kind:     by_value
      - .offset:         8
        .size:           8
        .value_kind:     by_value
      - .offset:         16
        .size:           16
        .value_kind:     by_value
    .group_segment_fixed_size: 0
    .kernarg_segment_align: 8
    .kernarg_segment_size: 32
    .language:       OpenCL C
    .language_version:
      - 2
      - 0
    .max_flat_workgroup_size: 256
    .name:           _ZN2at6native29vectorized_elementwise_kernelILi4EZZZNS0_12_GLOBAL__N_124renorm_scale_factor_implERNS_18TensorIteratorBaseEdENKUlvE_clEvENKUlvE_clEvEUldE_St5arrayIPcLm2EEEEviT0_T1_
    .private_segment_fixed_size: 0
    .sgpr_count:     19
    .sgpr_spill_count: 0
    .symbol:         _ZN2at6native29vectorized_elementwise_kernelILi4EZZZNS0_12_GLOBAL__N_124renorm_scale_factor_implERNS_18TensorIteratorBaseEdENKUlvE_clEvENKUlvE_clEvEUldE_St5arrayIPcLm2EEEEviT0_T1_.kd
    .uniform_work_group_size: 1
    .uses_dynamic_stack: false
    .vgpr_count:     24
    .vgpr_spill_count: 0
    .wavefront_size: 64
  - .args:
      - .offset:         0
        .size:           4
        .value_kind:     by_value
      - .offset:         8
        .size:           8
        .value_kind:     by_value
      - .offset:         16
        .size:           16
        .value_kind:     by_value
    .group_segment_fixed_size: 0
    .kernarg_segment_align: 8
    .kernarg_segment_size: 32
    .language:       OpenCL C
    .language_version:
      - 2
      - 0
    .max_flat_workgroup_size: 256
    .name:           _ZN2at6native29vectorized_elementwise_kernelILi2EZZZNS0_12_GLOBAL__N_124renorm_scale_factor_implERNS_18TensorIteratorBaseEdENKUlvE_clEvENKUlvE_clEvEUldE_St5arrayIPcLm2EEEEviT0_T1_
    .private_segment_fixed_size: 0
    .sgpr_count:     19
    .sgpr_spill_count: 0
    .symbol:         _ZN2at6native29vectorized_elementwise_kernelILi2EZZZNS0_12_GLOBAL__N_124renorm_scale_factor_implERNS_18TensorIteratorBaseEdENKUlvE_clEvENKUlvE_clEvEUldE_St5arrayIPcLm2EEEEviT0_T1_.kd
    .uniform_work_group_size: 1
    .uses_dynamic_stack: false
    .vgpr_count:     24
    .vgpr_spill_count: 0
    .wavefront_size: 64
  - .args:
      - .offset:         0
        .size:           4
        .value_kind:     by_value
      - .offset:         8
        .size:           8
        .value_kind:     by_value
      - .offset:         16
        .size:           16
        .value_kind:     by_value
      - .offset:         32
        .size:           1
        .value_kind:     by_value
      - .offset:         33
        .size:           1
        .value_kind:     by_value
      - .offset:         34
        .size:           1
        .value_kind:     by_value
      - .offset:         35
        .size:           1
        .value_kind:     by_value
    .group_segment_fixed_size: 0
    .kernarg_segment_align: 8
    .kernarg_segment_size: 36
    .language:       OpenCL C
    .language_version:
      - 2
      - 0
    .max_flat_workgroup_size: 256
    .name:           _ZN2at6native27unrolled_elementwise_kernelIZZZNS0_12_GLOBAL__N_124renorm_scale_factor_implERNS_18TensorIteratorBaseEdENKUlvE_clEvENKUlvE_clEvEUldE_St5arrayIPcLm2EELi4E23TrivialOffsetCalculatorILi1EjESC_NS0_6memory15LoadWithoutCastENSD_16StoreWithoutCastEEEviT_T0_T2_T3_T4_T5_
    .private_segment_fixed_size: 0
    .sgpr_count:     18
    .sgpr_spill_count: 0
    .symbol:         _ZN2at6native27unrolled_elementwise_kernelIZZZNS0_12_GLOBAL__N_124renorm_scale_factor_implERNS_18TensorIteratorBaseEdENKUlvE_clEvENKUlvE_clEvEUldE_St5arrayIPcLm2EELi4E23TrivialOffsetCalculatorILi1EjESC_NS0_6memory15LoadWithoutCastENSD_16StoreWithoutCastEEEviT_T0_T2_T3_T4_T5_.kd
    .uniform_work_group_size: 1
    .uses_dynamic_stack: false
    .vgpr_count:     24
    .vgpr_spill_count: 0
    .wavefront_size: 64
  - .args:
      - .offset:         0
        .size:           4
        .value_kind:     by_value
      - .offset:         8
        .size:           352
        .value_kind:     by_value
    .group_segment_fixed_size: 0
    .kernarg_segment_align: 8
    .kernarg_segment_size: 360
    .language:       OpenCL C
    .language_version:
      - 2
      - 0
    .max_flat_workgroup_size: 128
    .name:           _ZN2at6native32elementwise_kernel_manual_unrollILi128ELi4EZNS0_22gpu_kernel_impl_nocastIZZZNS0_12_GLOBAL__N_124renorm_scale_factor_implERNS_18TensorIteratorBaseEdENKUlvE_clEvENKUlvE_clEvEUldE_EEvS5_RKT_EUlibE_EEviT1_
    .private_segment_fixed_size: 0
    .sgpr_count:     66
    .sgpr_spill_count: 0
    .symbol:         _ZN2at6native32elementwise_kernel_manual_unrollILi128ELi4EZNS0_22gpu_kernel_impl_nocastIZZZNS0_12_GLOBAL__N_124renorm_scale_factor_implERNS_18TensorIteratorBaseEdENKUlvE_clEvENKUlvE_clEvEUldE_EEvS5_RKT_EUlibE_EEviT1_.kd
    .uniform_work_group_size: 1
    .uses_dynamic_stack: false
    .vgpr_count:     22
    .vgpr_spill_count: 0
    .wavefront_size: 64
  - .args:
      - .offset:         0
        .size:           4
        .value_kind:     by_value
      - .offset:         8
        .size:           40
        .value_kind:     by_value
    .group_segment_fixed_size: 0
    .kernarg_segment_align: 8
    .kernarg_segment_size: 48
    .language:       OpenCL C
    .language_version:
      - 2
      - 0
    .max_flat_workgroup_size: 128
    .name:           _ZN2at6native32elementwise_kernel_manual_unrollILi128ELi4EZNS0_15gpu_kernel_implIZZZNS0_12_GLOBAL__N_124renorm_scale_factor_implERNS_18TensorIteratorBaseEdENKUlvE_clEvENKUlvE_clEvEUldE_EEvS5_RKT_EUlibE_EEviT1_
    .private_segment_fixed_size: 0
    .sgpr_count:     50
    .sgpr_spill_count: 0
    .symbol:         _ZN2at6native32elementwise_kernel_manual_unrollILi128ELi4EZNS0_15gpu_kernel_implIZZZNS0_12_GLOBAL__N_124renorm_scale_factor_implERNS_18TensorIteratorBaseEdENKUlvE_clEvENKUlvE_clEvEUldE_EEvS5_RKT_EUlibE_EEviT1_.kd
    .uniform_work_group_size: 1
    .uses_dynamic_stack: false
    .vgpr_count:     17
    .vgpr_spill_count: 0
    .wavefront_size: 64
  - .args:
      - .offset:         0
        .size:           4
        .value_kind:     by_value
      - .offset:         8
        .size:           360
        .value_kind:     by_value
    .group_segment_fixed_size: 0
    .kernarg_segment_align: 8
    .kernarg_segment_size: 368
    .language:       OpenCL C
    .language_version:
      - 2
      - 0
    .max_flat_workgroup_size: 128
    .name:           _ZN2at6native32elementwise_kernel_manual_unrollILi128ELi4EZNS0_15gpu_kernel_implIZZZNS0_12_GLOBAL__N_124renorm_scale_factor_implERNS_18TensorIteratorBaseEdENKUlvE_clEvENKUlvE_clEvEUldE_EEvS5_RKT_EUlibE0_EEviT1_
    .private_segment_fixed_size: 0
    .sgpr_count:     84
    .sgpr_spill_count: 0
    .symbol:         _ZN2at6native32elementwise_kernel_manual_unrollILi128ELi4EZNS0_15gpu_kernel_implIZZZNS0_12_GLOBAL__N_124renorm_scale_factor_implERNS_18TensorIteratorBaseEdENKUlvE_clEvENKUlvE_clEvEUldE_EEvS5_RKT_EUlibE0_EEviT1_.kd
    .uniform_work_group_size: 1
    .uses_dynamic_stack: false
    .vgpr_count:     23
    .vgpr_spill_count: 0
    .wavefront_size: 64
  - .args:
      - .offset:         0
        .size:           4
        .value_kind:     by_value
      - .offset:         4
        .size:           4
        .value_kind:     by_value
      - .offset:         8
        .size:           16
        .value_kind:     by_value
    .group_segment_fixed_size: 0
    .kernarg_segment_align: 8
    .kernarg_segment_size: 24
    .language:       OpenCL C
    .language_version:
      - 2
      - 0
    .max_flat_workgroup_size: 256
    .name:           _ZN2at6native29vectorized_elementwise_kernelILi16EZZZNS0_12_GLOBAL__N_124renorm_scale_factor_implERNS_18TensorIteratorBaseEdENKUlvE_clEvENKUlvE0_clEvEUlfE_St5arrayIPcLm2EEEEviT0_T1_
    .private_segment_fixed_size: 0
    .sgpr_count:     18
    .sgpr_spill_count: 0
    .symbol:         _ZN2at6native29vectorized_elementwise_kernelILi16EZZZNS0_12_GLOBAL__N_124renorm_scale_factor_implERNS_18TensorIteratorBaseEdENKUlvE_clEvENKUlvE0_clEvEUlfE_St5arrayIPcLm2EEEEviT0_T1_.kd
    .uniform_work_group_size: 1
    .uses_dynamic_stack: false
    .vgpr_count:     14
    .vgpr_spill_count: 0
    .wavefront_size: 64
  - .args:
      - .offset:         0
        .size:           4
        .value_kind:     by_value
      - .offset:         4
        .size:           4
        .value_kind:     by_value
      - .offset:         8
        .size:           16
        .value_kind:     by_value
    .group_segment_fixed_size: 0
    .kernarg_segment_align: 8
    .kernarg_segment_size: 24
    .language:       OpenCL C
    .language_version:
      - 2
      - 0
    .max_flat_workgroup_size: 256
    .name:           _ZN2at6native29vectorized_elementwise_kernelILi8EZZZNS0_12_GLOBAL__N_124renorm_scale_factor_implERNS_18TensorIteratorBaseEdENKUlvE_clEvENKUlvE0_clEvEUlfE_St5arrayIPcLm2EEEEviT0_T1_
    .private_segment_fixed_size: 0
    .sgpr_count:     18
    .sgpr_spill_count: 0
    .symbol:         _ZN2at6native29vectorized_elementwise_kernelILi8EZZZNS0_12_GLOBAL__N_124renorm_scale_factor_implERNS_18TensorIteratorBaseEdENKUlvE_clEvENKUlvE0_clEvEUlfE_St5arrayIPcLm2EEEEviT0_T1_.kd
    .uniform_work_group_size: 1
    .uses_dynamic_stack: false
    .vgpr_count:     14
    .vgpr_spill_count: 0
    .wavefront_size: 64
  - .args:
      - .offset:         0
        .size:           4
        .value_kind:     by_value
      - .offset:         4
        .size:           4
        .value_kind:     by_value
      - .offset:         8
        .size:           16
        .value_kind:     by_value
    .group_segment_fixed_size: 0
    .kernarg_segment_align: 8
    .kernarg_segment_size: 24
    .language:       OpenCL C
    .language_version:
      - 2
      - 0
    .max_flat_workgroup_size: 256
    .name:           _ZN2at6native29vectorized_elementwise_kernelILi4EZZZNS0_12_GLOBAL__N_124renorm_scale_factor_implERNS_18TensorIteratorBaseEdENKUlvE_clEvENKUlvE0_clEvEUlfE_St5arrayIPcLm2EEEEviT0_T1_
    .private_segment_fixed_size: 0
    .sgpr_count:     18
    .sgpr_spill_count: 0
    .symbol:         _ZN2at6native29vectorized_elementwise_kernelILi4EZZZNS0_12_GLOBAL__N_124renorm_scale_factor_implERNS_18TensorIteratorBaseEdENKUlvE_clEvENKUlvE0_clEvEUlfE_St5arrayIPcLm2EEEEviT0_T1_.kd
    .uniform_work_group_size: 1
    .uses_dynamic_stack: false
    .vgpr_count:     14
    .vgpr_spill_count: 0
    .wavefront_size: 64
  - .args:
      - .offset:         0
        .size:           4
        .value_kind:     by_value
      - .offset:         4
        .size:           4
        .value_kind:     by_value
      - .offset:         8
        .size:           16
        .value_kind:     by_value
    .group_segment_fixed_size: 0
    .kernarg_segment_align: 8
    .kernarg_segment_size: 24
    .language:       OpenCL C
    .language_version:
      - 2
      - 0
    .max_flat_workgroup_size: 256
    .name:           _ZN2at6native29vectorized_elementwise_kernelILi2EZZZNS0_12_GLOBAL__N_124renorm_scale_factor_implERNS_18TensorIteratorBaseEdENKUlvE_clEvENKUlvE0_clEvEUlfE_St5arrayIPcLm2EEEEviT0_T1_
    .private_segment_fixed_size: 0
    .sgpr_count:     18
    .sgpr_spill_count: 0
    .symbol:         _ZN2at6native29vectorized_elementwise_kernelILi2EZZZNS0_12_GLOBAL__N_124renorm_scale_factor_implERNS_18TensorIteratorBaseEdENKUlvE_clEvENKUlvE0_clEvEUlfE_St5arrayIPcLm2EEEEviT0_T1_.kd
    .uniform_work_group_size: 1
    .uses_dynamic_stack: false
    .vgpr_count:     14
    .vgpr_spill_count: 0
    .wavefront_size: 64
  - .args:
      - .offset:         0
        .size:           4
        .value_kind:     by_value
      - .offset:         4
        .size:           4
        .value_kind:     by_value
      - .offset:         8
        .size:           16
        .value_kind:     by_value
      - .offset:         24
        .size:           1
        .value_kind:     by_value
      - .offset:         25
        .size:           1
        .value_kind:     by_value
      - .offset:         26
        .size:           1
        .value_kind:     by_value
      - .offset:         27
        .size:           1
        .value_kind:     by_value
    .group_segment_fixed_size: 0
    .kernarg_segment_align: 8
    .kernarg_segment_size: 28
    .language:       OpenCL C
    .language_version:
      - 2
      - 0
    .max_flat_workgroup_size: 256
    .name:           _ZN2at6native27unrolled_elementwise_kernelIZZZNS0_12_GLOBAL__N_124renorm_scale_factor_implERNS_18TensorIteratorBaseEdENKUlvE_clEvENKUlvE0_clEvEUlfE_St5arrayIPcLm2EELi4E23TrivialOffsetCalculatorILi1EjESC_NS0_6memory15LoadWithoutCastENSD_16StoreWithoutCastEEEviT_T0_T2_T3_T4_T5_
    .private_segment_fixed_size: 0
    .sgpr_count:     17
    .sgpr_spill_count: 0
    .symbol:         _ZN2at6native27unrolled_elementwise_kernelIZZZNS0_12_GLOBAL__N_124renorm_scale_factor_implERNS_18TensorIteratorBaseEdENKUlvE_clEvENKUlvE0_clEvEUlfE_St5arrayIPcLm2EELi4E23TrivialOffsetCalculatorILi1EjESC_NS0_6memory15LoadWithoutCastENSD_16StoreWithoutCastEEEviT_T0_T2_T3_T4_T5_.kd
    .uniform_work_group_size: 1
    .uses_dynamic_stack: false
    .vgpr_count:     14
    .vgpr_spill_count: 0
    .wavefront_size: 64
  - .args:
      - .offset:         0
        .size:           4
        .value_kind:     by_value
      - .offset:         8
        .size:           352
        .value_kind:     by_value
    .group_segment_fixed_size: 0
    .kernarg_segment_align: 8
    .kernarg_segment_size: 360
    .language:       OpenCL C
    .language_version:
      - 2
      - 0
    .max_flat_workgroup_size: 128
    .name:           _ZN2at6native32elementwise_kernel_manual_unrollILi128ELi4EZNS0_22gpu_kernel_impl_nocastIZZZNS0_12_GLOBAL__N_124renorm_scale_factor_implERNS_18TensorIteratorBaseEdENKUlvE_clEvENKUlvE0_clEvEUlfE_EEvS5_RKT_EUlibE_EEviT1_
    .private_segment_fixed_size: 0
    .sgpr_count:     65
    .sgpr_spill_count: 0
    .symbol:         _ZN2at6native32elementwise_kernel_manual_unrollILi128ELi4EZNS0_22gpu_kernel_impl_nocastIZZZNS0_12_GLOBAL__N_124renorm_scale_factor_implERNS_18TensorIteratorBaseEdENKUlvE_clEvENKUlvE0_clEvEUlfE_EEvS5_RKT_EUlibE_EEviT1_.kd
    .uniform_work_group_size: 1
    .uses_dynamic_stack: false
    .vgpr_count:     18
    .vgpr_spill_count: 0
    .wavefront_size: 64
  - .args:
      - .offset:         0
        .size:           4
        .value_kind:     by_value
      - .offset:         8
        .size:           32
        .value_kind:     by_value
    .group_segment_fixed_size: 0
    .kernarg_segment_align: 8
    .kernarg_segment_size: 40
    .language:       OpenCL C
    .language_version:
      - 2
      - 0
    .max_flat_workgroup_size: 128
    .name:           _ZN2at6native32elementwise_kernel_manual_unrollILi128ELi4EZNS0_15gpu_kernel_implIZZZNS0_12_GLOBAL__N_124renorm_scale_factor_implERNS_18TensorIteratorBaseEdENKUlvE_clEvENKUlvE0_clEvEUlfE_EEvS5_RKT_EUlibE_EEviT1_
    .private_segment_fixed_size: 0
    .sgpr_count:     49
    .sgpr_spill_count: 0
    .symbol:         _ZN2at6native32elementwise_kernel_manual_unrollILi128ELi4EZNS0_15gpu_kernel_implIZZZNS0_12_GLOBAL__N_124renorm_scale_factor_implERNS_18TensorIteratorBaseEdENKUlvE_clEvENKUlvE0_clEvEUlfE_EEvS5_RKT_EUlibE_EEviT1_.kd
    .uniform_work_group_size: 1
    .uses_dynamic_stack: false
    .vgpr_count:     12
    .vgpr_spill_count: 0
    .wavefront_size: 64
  - .args:
      - .offset:         0
        .size:           4
        .value_kind:     by_value
      - .offset:         8
        .size:           352
        .value_kind:     by_value
    .group_segment_fixed_size: 0
    .kernarg_segment_align: 8
    .kernarg_segment_size: 360
    .language:       OpenCL C
    .language_version:
      - 2
      - 0
    .max_flat_workgroup_size: 128
    .name:           _ZN2at6native32elementwise_kernel_manual_unrollILi128ELi4EZNS0_15gpu_kernel_implIZZZNS0_12_GLOBAL__N_124renorm_scale_factor_implERNS_18TensorIteratorBaseEdENKUlvE_clEvENKUlvE0_clEvEUlfE_EEvS5_RKT_EUlibE0_EEviT1_
    .private_segment_fixed_size: 0
    .sgpr_count:     83
    .sgpr_spill_count: 0
    .symbol:         _ZN2at6native32elementwise_kernel_manual_unrollILi128ELi4EZNS0_15gpu_kernel_implIZZZNS0_12_GLOBAL__N_124renorm_scale_factor_implERNS_18TensorIteratorBaseEdENKUlvE_clEvENKUlvE0_clEvEUlfE_EEvS5_RKT_EUlibE0_EEviT1_.kd
    .uniform_work_group_size: 1
    .uses_dynamic_stack: false
    .vgpr_count:     18
    .vgpr_spill_count: 0
    .wavefront_size: 64
amdhsa.target:   amdgcn-amd-amdhsa--gfx906
amdhsa.version:
  - 1
  - 2
...

	.end_amdgpu_metadata
